;; amdgpu-corpus repo=ROCm/rocFFT kind=compiled arch=gfx1201 opt=O3
	.text
	.amdgcn_target "amdgcn-amd-amdhsa--gfx1201"
	.amdhsa_code_object_version 6
	.protected	bluestein_single_back_len5488_dim1_sp_op_CI_CI ; -- Begin function bluestein_single_back_len5488_dim1_sp_op_CI_CI
	.globl	bluestein_single_back_len5488_dim1_sp_op_CI_CI
	.p2align	8
	.type	bluestein_single_back_len5488_dim1_sp_op_CI_CI,@function
bluestein_single_back_len5488_dim1_sp_op_CI_CI: ; @bluestein_single_back_len5488_dim1_sp_op_CI_CI
; %bb.0:
	s_load_b128 s[16:19], s[0:1], 0x28
	v_mul_u32_u24_e32 v1, 0x14f, v0
	s_mov_b32 s2, exec_lo
	v_mov_b32_e32 v3, 0
	s_delay_alu instid0(VALU_DEP_2) | instskip(NEXT) | instid1(VALU_DEP_1)
	v_lshrrev_b32_e32 v1, 16, v1
	v_add_nc_u32_e32 v2, ttmp9, v1
	s_wait_kmcnt 0x0
	s_delay_alu instid0(VALU_DEP_1)
	v_cmpx_gt_u64_e64 s[16:17], v[2:3]
	s_cbranch_execz .LBB0_2
; %bb.1:
	s_clause 0x1
	s_load_b128 s[4:7], s[0:1], 0x18
	s_load_b128 s[8:11], s[0:1], 0x0
	v_mul_lo_u16 v1, 0xc4, v1
	s_mov_b32 s2, 0xffff7320
	s_mov_b32 s3, -1
	s_load_b64 s[0:1], s[0:1], 0x38
	v_mov_b32_e32 v5, v2
	v_sub_nc_u16 v28, v0, v1
	scratch_store_b64 off, v[5:6], off      ; 8-byte Folded Spill
	v_and_b32_e32 v4, 0xffff, v28
	v_mul_lo_u16 v65, v28, 7
	v_add_nc_u16 v88, v28, 0x310
	v_add_nc_u16 v92, v28, 0x3d4
	;; [unrolled: 1-line block ×3, first 2 shown]
	s_delay_alu instid0(VALU_DEP_4) | instskip(SKIP_2) | instid1(VALU_DEP_1)
	v_dual_mov_b32 v6, v4 :: v_dual_and_b32 v65, 0xffff, v65
	s_wait_kmcnt 0x0
	s_load_b128 s[12:15], s[4:5], 0x0
	v_lshlrev_b32_e32 v65, 3, v65
	s_wait_kmcnt 0x0
	v_mad_co_u64_u32 v[0:1], null, s14, v2, 0
	v_mad_co_u64_u32 v[2:3], null, s12, v4, 0
	s_mul_u64 s[4:5], s[12:13], 0x1880
	s_delay_alu instid0(VALU_DEP_1) | instskip(NEXT) | instid1(VALU_DEP_1)
	v_mad_co_u64_u32 v[4:5], null, s15, v5, v[1:2]
	v_mov_b32_e32 v1, v4
	v_mov_b32_e32 v7, v6
	s_delay_alu instid0(VALU_DEP_2) | instskip(NEXT) | instid1(VALU_DEP_2)
	v_lshlrev_b64_e32 v[0:1], 3, v[0:1]
	v_mad_co_u64_u32 v[5:6], null, s13, v7, v[3:4]
	v_lshlrev_b32_e32 v233, 3, v7
	s_mul_u64 s[12:13], s[12:13], s[2:3]
	s_delay_alu instid0(VALU_DEP_3) | instskip(NEXT) | instid1(VALU_DEP_4)
	v_add_co_u32 v0, vcc_lo, s18, v0
	v_add_co_ci_u32_e32 v1, vcc_lo, s19, v1, vcc_lo
	s_delay_alu instid0(VALU_DEP_4) | instskip(SKIP_2) | instid1(VALU_DEP_1)
	v_mov_b32_e32 v3, v5
	global_load_b64 v[16:17], v233, s[8:9]
	v_lshlrev_b64_e32 v[2:3], 3, v[2:3]
	v_add_co_u32 v0, vcc_lo, v0, v2
	s_wait_alu 0xfffd
	s_delay_alu instid0(VALU_DEP_2) | instskip(NEXT) | instid1(VALU_DEP_2)
	v_add_co_ci_u32_e32 v1, vcc_lo, v1, v3, vcc_lo
	v_add_co_u32 v2, vcc_lo, v0, s4
	s_wait_alu 0xfffd
	s_delay_alu instid0(VALU_DEP_2)
	v_add_co_ci_u32_e32 v3, vcc_lo, s5, v1, vcc_lo
	global_load_b64 v[0:1], v[0:1], off
	global_load_b64 v[29:30], v233, s[8:9] offset:6272
	v_add_co_u32 v4, vcc_lo, v2, s4
	s_wait_alu 0xfffd
	v_add_co_ci_u32_e32 v5, vcc_lo, s5, v3, vcc_lo
	s_delay_alu instid0(VALU_DEP_2)
	v_add_co_u32 v6, vcc_lo, v4, s4
	s_wait_loadcnt 0x1
	v_mul_f32_e32 v14, v1, v17
	v_mov_b32_e32 v78, v7
	s_wait_alu 0xfffd
	v_add_co_ci_u32_e32 v7, vcc_lo, s5, v5, vcc_lo
	s_delay_alu instid0(VALU_DEP_3)
	v_fmac_f32_e32 v14, v0, v16
	global_load_b64 v[25:26], v233, s[8:9] offset:12544
	s_clause 0x1
	global_load_b64 v[2:3], v[2:3], off
	global_load_b64 v[8:9], v[4:5], off
	global_load_b64 v[23:24], v233, s[8:9] offset:18816
	global_load_b64 v[4:5], v[6:7], off
	v_add_co_u32 v6, vcc_lo, v6, s4
	s_wait_alu 0xfffd
	v_add_co_ci_u32_e32 v7, vcc_lo, s5, v7, vcc_lo
	global_load_b64 v[21:22], v233, s[8:9] offset:25088
	global_load_b64 v[10:11], v[6:7], off
	v_add_co_u32 v6, vcc_lo, v6, s4
	s_wait_alu 0xfffd
	v_add_co_ci_u32_e32 v7, vcc_lo, s5, v7, vcc_lo
	global_load_b64 v[19:20], v233, s[8:9] offset:31360
	global_load_b64 v[12:13], v[6:7], off
	v_mul_f32_e32 v15, v0, v17
	scratch_store_b64 off, v[16:17], off offset:224 ; 8-byte Folded Spill
	s_wait_loadcnt 0x9
	scratch_store_b64 off, v[29:30], off offset:168 ; 8-byte Folded Spill
	v_add_co_u32 v6, vcc_lo, v6, s4
	s_wait_alu 0xfffd
	v_add_co_ci_u32_e32 v7, vcc_lo, s5, v7, vcc_lo
	v_add_nc_u32_e32 v243, 0xc00, v233
	v_add_nc_u32_e32 v231, 0x1800, v233
	;; [unrolled: 1-line block ×4, first 2 shown]
	v_add_co_u32 v84, null, 0x188, v78
	v_add_co_u32 v85, null, 0x24c, v78
	s_delay_alu instid0(VALU_DEP_3)
	v_dual_mov_b32 v181, v38 :: v_dual_mov_b32 v182, v42
	s_wait_loadcnt 0x8
	scratch_store_b64 off, v[25:26], off offset:136 ; 8-byte Folded Spill
	s_wait_loadcnt 0x7
	v_mul_f32_e32 v0, v3, v30
	v_fma_f32 v15, v1, v16, -v15
	s_wait_loadcnt 0x6
	v_mul_f32_e32 v16, v9, v26
	v_mul_f32_e32 v17, v2, v30
	;; [unrolled: 1-line block ×3, first 2 shown]
	v_fmac_f32_e32 v0, v2, v29
	s_wait_loadcnt 0x4
	v_mul_f32_e32 v2, v4, v24
	v_fmac_f32_e32 v16, v8, v25
	v_fma_f32 v1, v3, v29, -v17
	v_fma_f32 v17, v9, v25, -v18
	s_clause 0x1
	global_load_b64 v[25:26], v233, s[8:9] offset:1568
	global_load_b64 v[29:30], v233, s[8:9] offset:37632
	s_wait_loadcnt 0x4
	v_mul_f32_e32 v8, v10, v22
	ds_store_b64 v233, v[0:1] offset:6272
	v_mul_f32_e32 v0, v5, v24
	v_fma_f32 v1, v5, v23, -v2
	s_wait_alu 0xfffe
	v_add_co_u32 v2, vcc_lo, v6, s12
	s_wait_alu 0xfffd
	v_add_co_ci_u32_e32 v3, vcc_lo, s13, v7, vcc_lo
	v_fmac_f32_e32 v0, v4, v23
	global_load_b64 v[4:5], v[6:7], off
	v_add_co_u32 v6, vcc_lo, v2, s4
	s_wait_alu 0xfffd
	v_add_co_ci_u32_e32 v7, vcc_lo, s5, v3, vcc_lo
	global_load_b64 v[2:3], v[2:3], off
	v_fma_f32 v9, v11, v21, -v8
	v_mul_f32_e32 v8, v11, v22
	ds_store_b64 v233, v[16:17] offset:12544
	global_load_b64 v[16:17], v233, s[8:9] offset:7840
	scratch_store_b64 off, v[21:22], off offset:128 ; 8-byte Folded Spill
	v_fmac_f32_e32 v8, v10, v21
	s_wait_loadcnt 0x5
	v_mul_f32_e32 v10, v12, v20
	ds_store_b64 v233, v[0:1] offset:18816
	v_mul_f32_e32 v0, v13, v20
	global_load_b64 v[21:22], v233, s[8:9] offset:9408
	ds_store_b64 v233, v[8:9] offset:25088
	v_fma_f32 v1, v13, v19, -v10
	v_add_co_u32 v10, vcc_lo, v6, s4
	s_wait_alu 0xfffd
	v_add_co_ci_u32_e32 v11, vcc_lo, s5, v7, vcc_lo
	global_load_b64 v[6:7], v[6:7], off
	v_fmac_f32_e32 v0, v12, v19
	s_clause 0x1
	scratch_store_b64 off, v[23:24], off offset:144
	scratch_store_b64 off, v[19:20], off offset:120
	ds_store_b64 v233, v[0:1] offset:31360
	s_wait_loadcnt 0x6
	scratch_store_b64 off, v[25:26], off offset:200 ; 8-byte Folded Spill
	s_wait_loadcnt 0x5
	scratch_store_b64 off, v[29:30], off offset:112 ; 8-byte Folded Spill
	s_wait_loadcnt 0x4
	v_mul_f32_e32 v0, v4, v30
	v_mul_f32_e32 v8, v5, v30
	s_wait_loadcnt 0x3
	v_mul_f32_e32 v1, v2, v26
	s_delay_alu instid0(VALU_DEP_3)
	v_fma_f32 v9, v5, v29, -v0
	v_mul_f32_e32 v0, v3, v26
	v_fmac_f32_e32 v8, v4, v29
	s_wait_loadcnt 0x2
	scratch_store_b64 off, v[16:17], off offset:192 ; 8-byte Folded Spill
	v_fma_f32 v1, v3, v25, -v1
	v_add_co_u32 v3, vcc_lo, v10, s4
	s_wait_alu 0xfffd
	v_add_co_ci_u32_e32 v4, vcc_lo, s5, v11, vcc_lo
	v_fmac_f32_e32 v0, v2, v25
	s_delay_alu instid0(VALU_DEP_3) | instskip(SKIP_1) | instid1(VALU_DEP_3)
	v_add_co_u32 v12, vcc_lo, v3, s4
	s_wait_alu 0xfffd
	v_add_co_ci_u32_e32 v13, vcc_lo, s5, v4, vcc_lo
	ds_store_b64 v233, v[8:9] offset:37632
	ds_store_2addr_b64 v233, v[14:15], v[0:1] offset1:196
	v_add_co_u32 v0, vcc_lo, v12, s4
	s_wait_alu 0xfffd
	v_add_co_ci_u32_e32 v1, vcc_lo, s5, v13, vcc_lo
	s_wait_loadcnt 0x0
	v_mul_f32_e32 v8, v7, v17
	v_add_co_u32 v14, vcc_lo, v0, s4
	s_wait_alu 0xfffd
	v_add_co_ci_u32_e32 v15, vcc_lo, s5, v1, vcc_lo
	v_mul_f32_e32 v2, v6, v17
	s_delay_alu instid0(VALU_DEP_3)
	v_add_co_u32 v5, vcc_lo, v14, s12
	v_fmac_f32_e32 v8, v6, v16
	s_wait_alu 0xfffd
	v_add_co_ci_u32_e32 v6, vcc_lo, s13, v15, vcc_lo
	v_fma_f32 v9, v7, v16, -v2
	v_add_co_u32 v16, vcc_lo, v5, s4
	s_wait_alu 0xfffd
	s_delay_alu instid0(VALU_DEP_3)
	v_add_co_ci_u32_e32 v17, vcc_lo, s5, v6, vcc_lo
	scratch_store_b64 off, v[21:22], off offset:40 ; 8-byte Folded Spill
	v_add_co_u32 v7, vcc_lo, v16, s4
	global_load_b64 v[18:19], v[16:17], off
	s_wait_loadcnt 0x0
	v_mul_f32_e32 v2, v18, v22
	s_delay_alu instid0(VALU_DEP_1) | instskip(SKIP_1) | instid1(VALU_DEP_1)
	v_fma_f32 v20, v19, v21, -v2
	v_dual_mul_f32 v19, v19, v22 :: v_dual_add_nc_u32 v2, 0x1e00, v233
	v_fmac_f32_e32 v19, v18, v21
	ds_store_2addr_b64 v2, v[8:9], v[19:20] offset0:20 offset1:216
	s_wait_alu 0xfffd
	v_add_co_ci_u32_e32 v8, vcc_lo, s5, v17, vcc_lo
	global_load_b64 v[9:10], v[10:11], off
	s_clause 0x1
	global_load_b64 v[16:17], v233, s[8:9] offset:14112
	global_load_b64 v[19:20], v233, s[8:9] offset:15680
	s_wait_loadcnt 0x1
	v_mul_f32_e32 v2, v9, v17
	scratch_store_b64 off, v[16:17], off offset:216 ; 8-byte Folded Spill
	s_wait_loadcnt 0x0
	scratch_store_b64 off, v[19:20], off offset:48 ; 8-byte Folded Spill
	v_fma_f32 v11, v10, v16, -v2
	v_mul_f32_e32 v10, v10, v17
	s_delay_alu instid0(VALU_DEP_1)
	v_fmac_f32_e32 v10, v9, v16
	global_load_b64 v[16:17], v[7:8], off
	v_add_co_u32 v7, vcc_lo, v7, s4
	s_wait_alu 0xfffd
	v_add_co_ci_u32_e32 v8, vcc_lo, s5, v8, vcc_lo
	s_wait_loadcnt 0x0
	v_mul_f32_e32 v2, v16, v20
	s_delay_alu instid0(VALU_DEP_1) | instskip(SKIP_1) | instid1(VALU_DEP_1)
	v_fma_f32 v18, v17, v19, -v2
	v_dual_mul_f32 v17, v17, v20 :: v_dual_add_nc_u32 v2, 0x3600, v233
	v_fmac_f32_e32 v17, v16, v19
	ds_store_2addr_b64 v2, v[10:11], v[17:18] offset0:36 offset1:232
	global_load_b64 v[2:3], v[3:4], off
	s_clause 0x1
	global_load_b64 v[9:10], v233, s[8:9] offset:20384
	global_load_b64 v[16:17], v233, s[8:9] offset:21952
	s_wait_loadcnt 0x1
	v_mul_f32_e32 v4, v2, v10
	scratch_store_b64 off, v[9:10], off offset:208 ; 8-byte Folded Spill
	s_wait_loadcnt 0x0
	scratch_store_b64 off, v[16:17], off offset:24 ; 8-byte Folded Spill
	v_fma_f32 v4, v3, v9, -v4
	v_mul_f32_e32 v3, v3, v10
	s_delay_alu instid0(VALU_DEP_1) | instskip(SKIP_3) | instid1(VALU_DEP_1)
	v_fmac_f32_e32 v3, v2, v9
	global_load_b64 v[9:10], v[7:8], off
	s_wait_loadcnt 0x0
	v_mul_f32_e32 v2, v9, v17
	v_fma_f32 v11, v10, v16, -v2
	v_mul_f32_e32 v10, v10, v17
	v_add_nc_u32_e32 v2, 0x4e00, v233
	s_delay_alu instid0(VALU_DEP_2)
	v_fmac_f32_e32 v10, v9, v16
	ds_store_2addr_b64 v2, v[3:4], v[10:11] offset0:52 offset1:248
	v_add_co_u32 v2, vcc_lo, v7, s4
	s_wait_alu 0xfffd
	v_add_co_ci_u32_e32 v3, vcc_lo, s5, v8, vcc_lo
	global_load_b64 v[7:8], v[12:13], off
	s_clause 0x1
	global_load_b64 v[10:11], v233, s[8:9] offset:26656
	global_load_b64 v[16:17], v233, s[8:9] offset:28224
	s_wait_loadcnt 0x1
	v_mul_f32_e32 v4, v7, v11
	scratch_store_b64 off, v[10:11], off offset:184 ; 8-byte Folded Spill
	s_wait_loadcnt 0x0
	scratch_store_b64 off, v[16:17], off offset:32 ; 8-byte Folded Spill
	v_fma_f32 v9, v8, v10, -v4
	v_mul_f32_e32 v8, v8, v11
	s_delay_alu instid0(VALU_DEP_1)
	v_fmac_f32_e32 v8, v7, v10
	global_load_b64 v[10:11], v[2:3], off
	v_add_co_u32 v2, vcc_lo, v2, s4
	s_wait_alu 0xfffd
	v_add_co_ci_u32_e32 v3, vcc_lo, s5, v3, vcc_lo
	s_wait_loadcnt 0x0
	v_mul_f32_e32 v4, v10, v17
	s_delay_alu instid0(VALU_DEP_1) | instskip(SKIP_3) | instid1(VALU_DEP_3)
	v_fma_f32 v12, v11, v16, -v4
	v_mul_f32_e32 v11, v11, v17
	v_add_nc_u32_e32 v4, 0x6800, v233
	v_add_nc_u32_e32 v17, 0x4800, v233
	v_dual_fmac_f32 v11, v10, v16 :: v_dual_add_nc_u32 v16, 0x7a00, v233
	s_delay_alu instid0(VALU_DEP_2)
	v_mov_b32_e32 v165, v17
	ds_store_2addr_b64 v4, v[8:9], v[11:12] offset0:4 offset1:200
	global_load_b64 v[0:1], v[0:1], off
	s_clause 0x1
	global_load_b64 v[9:10], v233, s[8:9] offset:32928
	global_load_b64 v[11:12], v233, s[8:9] offset:34496
	v_mov_b32_e32 v163, v16
	s_wait_loadcnt 0x1
	v_mul_f32_e32 v4, v0, v10
	v_mul_f32_e32 v7, v1, v10
	scratch_store_b64 off, v[9:10], off offset:176 ; 8-byte Folded Spill
	s_wait_loadcnt 0x0
	scratch_store_b64 off, v[11:12], off offset:8 ; 8-byte Folded Spill
	v_fma_f32 v8, v1, v9, -v4
	v_fmac_f32_e32 v7, v0, v9
	global_load_b64 v[0:1], v[2:3], off
	s_wait_loadcnt 0x0
	v_mul_f32_e32 v4, v0, v12
	v_mul_f32_e32 v9, v1, v12
	s_delay_alu instid0(VALU_DEP_2) | instskip(NEXT) | instid1(VALU_DEP_2)
	v_fma_f32 v10, v1, v11, -v4
	v_dual_fmac_f32 v9, v0, v11 :: v_dual_add_nc_u32 v0, 0x8000, v233
	ds_store_2addr_b64 v0, v[7:8], v[9:10] offset0:20 offset1:216
	v_add_co_u32 v0, vcc_lo, v2, s4
	s_wait_alu 0xfffd
	v_add_co_ci_u32_e32 v1, vcc_lo, s5, v3, vcc_lo
	global_load_b64 v[2:3], v[14:15], off
	s_clause 0x1
	global_load_b64 v[7:8], v233, s[8:9] offset:39200
	global_load_b64 v[10:11], v233, s[8:9] offset:40768
	s_wait_loadcnt 0x1
	v_mul_f32_e32 v4, v2, v8
	scratch_store_b64 off, v[7:8], off offset:160 ; 8-byte Folded Spill
	s_wait_loadcnt 0x0
	scratch_store_b64 off, v[10:11], off offset:16 ; 8-byte Folded Spill
	v_fma_f32 v4, v3, v7, -v4
	v_mul_f32_e32 v3, v3, v8
	s_delay_alu instid0(VALU_DEP_1)
	v_fmac_f32_e32 v3, v2, v7
	global_load_b64 v[7:8], v[0:1], off
	v_add_co_u32 v0, vcc_lo, v0, s12
	s_wait_alu 0xfffd
	v_add_co_ci_u32_e32 v1, vcc_lo, s13, v1, vcc_lo
	s_wait_loadcnt 0x0
	v_mul_f32_e32 v2, v7, v11
	s_delay_alu instid0(VALU_DEP_1) | instskip(SKIP_2) | instid1(VALU_DEP_2)
	v_fma_f32 v9, v8, v10, -v2
	v_mul_f32_e32 v8, v8, v11
	v_add_nc_u32_e32 v2, 0x9800, v233
	v_fmac_f32_e32 v8, v7, v10
	ds_store_2addr_b64 v2, v[3:4], v[8:9] offset0:36 offset1:232
	global_load_b64 v[2:3], v[5:6], off
	s_clause 0x1
	global_load_b64 v[5:6], v233, s[8:9] offset:3136
	global_load_b64 v[8:9], v233, s[8:9] offset:4704
	s_wait_loadcnt 0x1
	v_mul_f32_e32 v4, v2, v6
	scratch_store_b64 off, v[5:6], off offset:152 ; 8-byte Folded Spill
	s_wait_loadcnt 0x0
	scratch_store_b64 off, v[8:9], off offset:104 ; 8-byte Folded Spill
	v_fma_f32 v4, v3, v5, -v4
	v_mul_f32_e32 v3, v3, v6
	s_delay_alu instid0(VALU_DEP_1)
	v_fmac_f32_e32 v3, v2, v5
	global_load_b64 v[5:6], v[0:1], off
	v_add_co_u32 v0, vcc_lo, v0, s4
	s_wait_alu 0xfffd
	v_add_co_ci_u32_e32 v1, vcc_lo, s5, v1, vcc_lo
	s_wait_loadcnt 0x0
	v_mul_f32_e32 v2, v5, v9
	s_delay_alu instid0(VALU_DEP_1) | instskip(SKIP_2) | instid1(VALU_DEP_2)
	v_fma_f32 v7, v6, v8, -v2
	v_mul_f32_e32 v6, v6, v9
	v_add_co_u32 v2, vcc_lo, v0, s4
	v_fmac_f32_e32 v6, v5, v8
	ds_store_2addr_b64 v243, v[3:4], v[6:7] offset0:8 offset1:204
	s_wait_alu 0xfffd
	v_add_co_ci_u32_e32 v3, vcc_lo, s5, v1, vcc_lo
	global_load_b64 v[0:1], v[0:1], off
	global_load_b64 v[6:7], v233, s[8:9] offset:10976
	s_wait_loadcnt 0x0
	v_mul_f32_e32 v4, v0, v7
	scratch_store_b64 off, v[6:7], off offset:96 ; 8-byte Folded Spill
	v_fma_f32 v5, v1, v6, -v4
	v_mul_f32_e32 v4, v1, v7
	s_delay_alu instid0(VALU_DEP_1)
	v_fmac_f32_e32 v4, v0, v6
	v_add_co_u32 v0, vcc_lo, v2, s4
	s_wait_alu 0xfffd
	v_add_co_ci_u32_e32 v1, vcc_lo, s5, v3, vcc_lo
	global_load_b64 v[2:3], v[2:3], off
	global_load_b64 v[8:9], v233, s[8:9] offset:17248
	ds_store_b64 v233, v[4:5] offset:10976
	s_wait_loadcnt 0x0
	v_mul_f32_e32 v6, v2, v9
	scratch_store_b64 off, v[8:9], off offset:88 ; 8-byte Folded Spill
	v_fma_f32 v7, v3, v8, -v6
	v_mul_f32_e32 v6, v3, v9
	s_delay_alu instid0(VALU_DEP_1)
	v_fmac_f32_e32 v6, v2, v8
	v_add_co_u32 v2, vcc_lo, v0, s4
	s_wait_alu 0xfffd
	v_add_co_ci_u32_e32 v3, vcc_lo, s5, v1, vcc_lo
	global_load_b64 v[0:1], v[0:1], off
	global_load_b64 v[8:9], v233, s[8:9] offset:23520
	s_wait_loadcnt 0x0
	v_mul_f32_e32 v4, v0, v9
	scratch_store_b64 off, v[8:9], off offset:80 ; 8-byte Folded Spill
	v_fma_f32 v5, v1, v8, -v4
	v_mul_f32_e32 v4, v1, v9
	s_delay_alu instid0(VALU_DEP_1)
	v_fmac_f32_e32 v4, v0, v8
	v_add_co_u32 v0, vcc_lo, v2, s4
	s_wait_alu 0xfffd
	v_add_co_ci_u32_e32 v1, vcc_lo, s5, v3, vcc_lo
	global_load_b64 v[2:3], v[2:3], off
	global_load_b64 v[10:11], v233, s[8:9] offset:29792
	;; [unrolled: 12-line block ×3, first 2 shown]
	s_wait_loadcnt 0x0
	v_mul_f32_e32 v10, v0, v13
	scratch_store_b64 off, v[12:13], off offset:64 ; 8-byte Folded Spill
	v_fma_f32 v11, v1, v12, -v10
	v_mul_f32_e32 v10, v1, v13
	s_delay_alu instid0(VALU_DEP_1)
	v_fmac_f32_e32 v10, v0, v12
	global_load_b64 v[0:1], v[2:3], off
	global_load_b64 v[12:13], v233, s[8:9] offset:42336
	s_wait_loadcnt 0x0
	v_mul_f32_e32 v2, v0, v13
	scratch_store_b64 off, v[12:13], off offset:56 ; 8-byte Folded Spill
	v_fma_f32 v2, v1, v12, -v2
	v_mul_f32_e32 v1, v1, v13
	s_delay_alu instid0(VALU_DEP_1)
	v_dual_fmac_f32 v1, v0, v12 :: v_dual_add_nc_u32 v0, 0x9200, v233
	ds_store_b64 v233, v[6:7] offset:17248
	ds_store_b64 v233, v[4:5] offset:23520
	;; [unrolled: 1-line block ×5, first 2 shown]
	s_load_b128 s[4:7], s[6:7], 0x0
	global_wb scope:SCOPE_SE
	s_wait_storecnt_dscnt 0x0
	s_wait_kmcnt 0x0
	s_barrier_signal -1
	s_barrier_wait -1
	global_inv scope:SCOPE_SE
	ds_load_2addr_b64 v[4:7], v231 offset0:16 offset1:212
	ds_load_2addr_b64 v[8:11], v0 offset0:32 offset1:228
	v_dual_mov_b32 v161, v0 :: v_dual_add_nc_u32 v12, 0x3000, v233
	s_delay_alu instid0(VALU_DEP_1)
	v_mov_b32_e32 v166, v12
	s_mul_u64 s[2:3], s[4:5], s[2:3]
	s_wait_dscnt 0x0
	v_dual_add_f32 v0, v4, v8 :: v_dual_add_f32 v1, v5, v9
	v_dual_sub_f32 v3, v5, v9 :: v_dual_sub_f32 v2, v4, v8
	v_dual_add_f32 v4, v6, v10 :: v_dual_add_f32 v5, v7, v11
	v_dual_sub_f32 v6, v6, v10 :: v_dual_sub_f32 v7, v7, v11
	ds_load_2addr_b64 v[8:11], v12 offset0:32 offset1:228
	ds_load_2addr_b64 v[12:15], v16 offset0:16 offset1:212
	s_wait_dscnt 0x0
	v_sub_f32_e32 v23, v9, v13
	v_add_nc_u32_e32 v16, 0x6200, v233
	v_dual_add_f32 v20, v8, v12 :: v_dual_add_f32 v21, v9, v13
	v_sub_f32_e32 v22, v8, v12
	v_dual_add_f32 v8, v10, v14 :: v_dual_add_f32 v9, v11, v15
	v_dual_sub_f32 v10, v10, v14 :: v_dual_sub_f32 v11, v11, v15
	ds_load_2addr_b64 v[12:15], v17 offset0:48 offset1:244
	ds_load_2addr_b64 v[29:32], v16 offset1:196
	s_wait_dscnt 0x0
	v_dual_sub_f32 v24, v30, v13 :: v_dual_sub_f32 v25, v29, v12
	v_dual_add_f32 v27, v12, v29 :: v_dual_add_f32 v26, v13, v30
	v_add_nc_u32_e32 v13, 0x2400, v233
	s_delay_alu instid0(VALU_DEP_3) | instskip(SKIP_2) | instid1(VALU_DEP_3)
	v_dual_sub_f32 v71, v24, v23 :: v_dual_sub_f32 v70, v2, v25
	v_add_nc_u32_e32 v12, 0x9e00, v233
	v_dual_sub_f32 v72, v3, v24 :: v_dual_add_f32 v19, v14, v31
	v_dual_mul_f32 v71, 0xbf08b237, v71 :: v_dual_add_f32 v68, v25, v22
	v_sub_f32_e32 v69, v25, v22
	v_dual_add_f32 v25, v24, v23 :: v_dual_add_f32 v18, v15, v32
	v_sub_f32_e32 v17, v31, v14
	ds_load_2addr_b64 v[34:37], v12 offset0:40 offset1:236
	v_fmamk_f32 v75, v72, 0x3eae86e6, v71
	v_add_f32_e32 v73, v25, v3
	v_dual_sub_f32 v3, v23, v3 :: v_dual_mov_b32 v164, v16
	v_mul_f32_e32 v69, 0xbf08b237, v69
	v_add_nc_u32_e32 v29, 0x8600, v233
	s_delay_alu instid0(VALU_DEP_4) | instskip(NEXT) | instid1(VALU_DEP_4)
	v_fmac_f32_e32 v75, 0x3ee1c552, v73
	v_fma_f32 v23, 0x3f5ff5aa, v3, -v71
	v_sub_f32_e32 v16, v32, v15
	ds_load_2addr_b64 v[30:33], v13 offset0:24 offset1:220
	v_fmamk_f32 v74, v70, 0x3eae86e6, v69
	v_dual_mov_b32 v158, v13 :: v_dual_mov_b32 v167, v29
	v_fmac_f32_e32 v23, 0x3ee1c552, v73
	v_sub_f32_e32 v67, v1, v26
	s_delay_alu instid0(VALU_DEP_1) | instskip(SKIP_4) | instid1(VALU_DEP_2)
	v_mul_f32_e32 v67, 0x3f4a47b2, v67
	s_wait_dscnt 0x0
	v_dual_sub_f32 v15, v31, v35 :: v_dual_add_f32 v68, v68, v2
	v_dual_sub_f32 v2, v22, v2 :: v_dual_add_f32 v13, v31, v35
	;; [unrolled: 1-line block ×3, first 2 shown]
	v_dual_sub_f32 v33, v33, v37 :: v_dual_mul_f32 v22, 0xbf5ff5aa, v2
	s_delay_alu instid0(VALU_DEP_4) | instskip(NEXT) | instid1(VALU_DEP_2)
	v_fmac_f32_e32 v74, 0x3ee1c552, v68
	v_fmac_f32_e32 v22, 0xbeae86e6, v70
	s_delay_alu instid0(VALU_DEP_1)
	v_fmac_f32_e32 v22, 0x3ee1c552, v68
	v_mov_b32_e32 v162, v12
	v_add_f32_e32 v12, v30, v34
	v_add_f32_e32 v30, v32, v36
	v_sub_f32_e32 v32, v32, v36
	ds_load_2addr_b64 v[34:37], v38 offset0:40 offset1:236
	ds_load_2addr_b64 v[38:41], v29 offset0:24 offset1:220
	v_add_nc_u32_e32 v29, 0x6e00, v233
	s_delay_alu instid0(VALU_DEP_1)
	v_mov_b32_e32 v180, v29
	s_wait_dscnt 0x0
	v_dual_add_f32 v46, v34, v38 :: v_dual_add_f32 v47, v35, v39
	v_dual_sub_f32 v48, v34, v38 :: v_dual_sub_f32 v49, v35, v39
	v_dual_add_f32 v34, v36, v40 :: v_dual_add_f32 v35, v37, v41
	v_dual_sub_f32 v36, v36, v40 :: v_dual_sub_f32 v37, v37, v41
	ds_load_2addr_b64 v[38:41], v42 offset0:56 offset1:252
	ds_load_2addr_b64 v[42:45], v29 offset0:8 offset1:204
	v_add_f32_e32 v29, v20, v0
	s_wait_dscnt 0x0
	s_delay_alu instid0(VALU_DEP_1) | instskip(SKIP_3) | instid1(VALU_DEP_2)
	v_dual_add_f32 v29, v27, v29 :: v_dual_add_f32 v50, v38, v42
	v_sub_f32_e32 v52, v42, v38
	v_dual_add_f32 v38, v21, v1 :: v_dual_add_f32 v51, v39, v43
	v_dual_sub_f32 v53, v43, v39 :: v_dual_add_f32 v54, v40, v44
	v_dual_add_f32 v55, v41, v45 :: v_dual_add_f32 v58, v26, v38
	v_add_f32_e32 v38, v8, v4
	v_dual_sub_f32 v56, v44, v40 :: v_dual_sub_f32 v57, v45, v41
	v_dual_sub_f32 v1, v21, v1 :: v_dual_sub_f32 v66, v0, v27
	s_delay_alu instid0(VALU_DEP_3) | instskip(SKIP_1) | instid1(VALU_DEP_3)
	v_dual_add_f32 v59, v19, v38 :: v_dual_add_f32 v38, v9, v5
	v_dual_sub_f32 v27, v27, v20 :: v_dual_sub_f32 v26, v26, v21
	v_mul_f32_e32 v66, 0x3f4a47b2, v66
	v_sub_f32_e32 v0, v20, v0
	s_delay_alu instid0(VALU_DEP_4)
	v_add_f32_e32 v60, v18, v38
	ds_load_2addr_b64 v[38:41], v233 offset1:196
	v_mul_f32_e32 v20, 0x3d64c772, v27
	v_fmamk_f32 v24, v27, 0x3d64c772, v66
	v_fma_f32 v21, 0x3f5ff5aa, v2, -v69
	v_mul_f32_e32 v2, 0x3d64c772, v26
	s_delay_alu instid0(VALU_DEP_4) | instskip(SKIP_1) | instid1(VALU_DEP_4)
	v_fma_f32 v20, 0x3f3bfb3b, v0, -v20
	v_fma_f32 v0, 0xbf3bfb3b, v0, -v66
	v_fmac_f32_e32 v21, 0x3ee1c552, v68
	s_delay_alu instid0(VALU_DEP_4)
	v_fma_f32 v2, 0x3f3bfb3b, v1, -v2
	v_fma_f32 v1, 0xbf3bfb3b, v1, -v67
	s_wait_dscnt 0x0
	v_add_f32_e32 v42, v38, v29
	v_dual_add_f32 v38, v46, v12 :: v_dual_add_f32 v43, v39, v58
	v_dual_add_f32 v44, v40, v59 :: v_dual_add_f32 v45, v41, v60
	s_delay_alu instid0(VALU_DEP_3) | instskip(NEXT) | instid1(VALU_DEP_3)
	v_fmamk_f32 v29, v29, 0xbf955555, v42
	v_dual_add_f32 v61, v50, v38 :: v_dual_add_f32 v38, v47, v13
	s_delay_alu instid0(VALU_DEP_4) | instskip(NEXT) | instid1(VALU_DEP_3)
	v_fmamk_f32 v58, v58, 0xbf955555, v43
	v_add_f32_e32 v20, v20, v29
	s_delay_alu instid0(VALU_DEP_3)
	v_add_f32_e32 v62, v51, v38
	v_add_f32_e32 v76, v24, v29
	v_fmamk_f32 v24, v26, 0x3d64c772, v67
	v_add_f32_e32 v38, v34, v30
	v_add_f32_e32 v26, v1, v58
	v_dual_add_f32 v27, v2, v58 :: v_dual_sub_f32 v2, v20, v23
	s_delay_alu instid0(VALU_DEP_4) | instskip(NEXT) | instid1(VALU_DEP_4)
	v_add_f32_e32 v77, v24, v58
	v_dual_add_f32 v63, v54, v38 :: v_dual_add_f32 v38, v35, v31
	s_delay_alu instid0(VALU_DEP_4) | instskip(NEXT) | instid1(VALU_DEP_3)
	v_dual_add_f32 v24, v76, v75 :: v_dual_sub_f32 v1, v26, v22
	v_sub_f32_e32 v25, v77, v74
	s_delay_alu instid0(VALU_DEP_3)
	v_add_f32_e32 v64, v55, v38
	ds_load_2addr_b64 v[38:41], v243 offset0:8 offset1:204
	global_wb scope:SCOPE_SE
	s_wait_dscnt 0x0
	s_barrier_signal -1
	s_barrier_wait -1
	global_inv scope:SCOPE_SE
	ds_store_2addr_b64 v65, v[42:43], v[24:25] offset1:1
	v_dual_mul_f32 v24, 0xbf5ff5aa, v3 :: v_dual_add_f32 v25, v0, v29
	v_add_f32_e32 v3, v21, v27
	v_add_co_u32 v29, null, 0xc4, v78
	s_delay_alu instid0(VALU_DEP_3) | instskip(NEXT) | instid1(VALU_DEP_1)
	v_fmac_f32_e32 v24, 0xbeae86e6, v72
	v_fmac_f32_e32 v24, 0x3ee1c552, v73
	v_add_f32_e32 v40, v40, v63
	s_delay_alu instid0(VALU_DEP_2)
	v_add_f32_e32 v0, v24, v25
	ds_store_2addr_b64 v65, v[0:1], v[2:3] offset0:2 offset1:3
	v_add_f32_e32 v0, v23, v20
	v_dual_sub_f32 v1, v27, v21 :: v_dual_sub_f32 v2, v25, v24
	v_add_f32_e32 v3, v22, v26
	v_sub_f32_e32 v21, v16, v11
	v_add_f32_e32 v20, v16, v11
	v_sub_f32_e32 v16, v7, v16
	v_fmamk_f32 v24, v59, 0xbf955555, v44
	ds_store_2addr_b64 v65, v[0:1], v[2:3] offset0:4 offset1:5
	v_dual_sub_f32 v0, v76, v75 :: v_dual_add_f32 v1, v74, v77
	v_dual_sub_f32 v2, v19, v8 :: v_dual_sub_f32 v3, v18, v9
	v_dual_mul_f32 v21, 0xbf08b237, v21 :: v_dual_add_f32 v20, v20, v7
	ds_store_b64 v65, v[0:1] offset:48
	v_dual_sub_f32 v0, v4, v19 :: v_dual_sub_f32 v1, v5, v18
	v_sub_f32_e32 v19, v17, v10
	v_dual_add_f32 v18, v17, v10 :: v_dual_sub_f32 v17, v6, v17
	s_delay_alu instid0(VALU_DEP_3) | instskip(NEXT) | instid1(VALU_DEP_2)
	v_dual_mul_f32 v22, 0x3f4a47b2, v0 :: v_dual_mul_f32 v23, 0x3f4a47b2, v1
	v_dual_mul_f32 v19, 0xbf08b237, v19 :: v_dual_add_f32 v18, v18, v6
	v_fmamk_f32 v25, v60, 0xbf955555, v45
	s_delay_alu instid0(VALU_DEP_3) | instskip(SKIP_1) | instid1(VALU_DEP_4)
	v_fmamk_f32 v0, v2, 0x3d64c772, v22
	v_fmamk_f32 v27, v16, 0x3eae86e6, v21
	;; [unrolled: 1-line block ×3, first 2 shown]
	v_mul_f32_e32 v2, 0x3d64c772, v2
	s_delay_alu instid0(VALU_DEP_4) | instskip(SKIP_1) | instid1(VALU_DEP_4)
	v_add_f32_e32 v42, v0, v24
	v_fmamk_f32 v0, v3, 0x3d64c772, v23
	v_dual_fmac_f32 v26, 0x3ee1c552, v18 :: v_dual_fmac_f32 v27, 0x3ee1c552, v20
	v_mul_f32_e32 v3, 0x3d64c772, v3
	s_delay_alu instid0(VALU_DEP_3) | instskip(SKIP_1) | instid1(VALU_DEP_1)
	v_add_f32_e32 v43, v0, v25
	v_mul_u32_u24_e32 v0, 7, v29
	v_dual_sub_f32 v1, v43, v26 :: v_dual_lshlrev_b32 v58, 3, v0
	v_add_f32_e32 v0, v42, v27
	ds_store_2addr_b64 v58, v[44:45], v[0:1] offset1:1
	v_dual_sub_f32 v0, v8, v4 :: v_dual_sub_f32 v1, v9, v5
	v_dual_sub_f32 v4, v10, v6 :: v_dual_sub_f32 v5, v11, v7
	s_delay_alu instid0(VALU_DEP_2) | instskip(SKIP_1) | instid1(VALU_DEP_3)
	v_fma_f32 v2, 0x3f3bfb3b, v0, -v2
	v_fma_f32 v0, 0xbf3bfb3b, v0, -v22
	;; [unrolled: 1-line block ×3, first 2 shown]
	v_mul_f32_e32 v4, 0xbf5ff5aa, v4
	v_fma_f32 v7, 0x3f5ff5aa, v5, -v21
	v_mul_f32_e32 v5, 0xbf5ff5aa, v5
	v_fma_f32 v3, 0x3f3bfb3b, v1, -v3
	v_fma_f32 v1, 0xbf3bfb3b, v1, -v23
	v_fmac_f32_e32 v4, 0xbeae86e6, v17
	v_fmac_f32_e32 v6, 0x3ee1c552, v18
	;; [unrolled: 1-line block ×4, first 2 shown]
	v_add_f32_e32 v8, v2, v24
	v_dual_fmac_f32 v4, 0x3ee1c552, v18 :: v_dual_add_f32 v9, v0, v24
	s_delay_alu instid0(VALU_DEP_4) | instskip(NEXT) | instid1(VALU_DEP_3)
	v_dual_fmac_f32 v5, 0x3ee1c552, v20 :: v_dual_add_f32 v10, v1, v25
	v_dual_add_f32 v11, v3, v25 :: v_dual_sub_f32 v2, v8, v7
	v_add_f32_e32 v38, v38, v61
	s_delay_alu instid0(VALU_DEP_3) | instskip(NEXT) | instid1(VALU_DEP_3)
	v_dual_add_f32 v0, v5, v9 :: v_dual_sub_f32 v1, v10, v4
	v_add_f32_e32 v3, v6, v11
	v_add_f32_e32 v39, v39, v62
	v_mul_u32_u24_e32 v22, 7, v84
	v_add_f32_e32 v41, v41, v64
	ds_store_2addr_b64 v58, v[0:1], v[2:3] offset0:2 offset1:3
	v_add_f32_e32 v0, v7, v8
	v_dual_sub_f32 v1, v11, v6 :: v_dual_sub_f32 v2, v9, v5
	v_add_f32_e32 v3, v4, v10
	v_dual_sub_f32 v5, v52, v48 :: v_dual_sub_f32 v8, v53, v49
	v_add_f32_e32 v4, v52, v48
	v_sub_f32_e32 v6, v14, v52
	ds_store_2addr_b64 v58, v[0:1], v[2:3] offset0:4 offset1:5
	v_sub_f32_e32 v0, v42, v27
	v_add_f32_e32 v1, v26, v43
	v_dual_sub_f32 v2, v50, v46 :: v_dual_sub_f32 v3, v51, v47
	v_add_f32_e32 v7, v53, v49
	v_sub_f32_e32 v9, v15, v53
	ds_store_b64 v58, v[0:1] offset:48
	v_dual_sub_f32 v0, v12, v50 :: v_dual_sub_f32 v1, v13, v51
	v_dual_mul_f32 v5, 0xbf08b237, v5 :: v_dual_mul_f32 v8, 0xbf08b237, v8
	v_fmamk_f32 v16, v61, 0xbf955555, v38
	s_delay_alu instid0(VALU_DEP_3) | instskip(SKIP_2) | instid1(VALU_DEP_3)
	v_dual_mul_f32 v10, 0x3f4a47b2, v0 :: v_dual_mul_f32 v11, 0x3f4a47b2, v1
	v_dual_add_f32 v4, v4, v14 :: v_dual_add_f32 v7, v7, v15
	v_fmamk_f32 v17, v62, 0xbf955555, v39
	v_fmamk_f32 v0, v2, 0x3d64c772, v10
	v_dual_fmamk_f32 v18, v6, 0x3eae86e6, v5 :: v_dual_fmamk_f32 v19, v9, 0x3eae86e6, v8
	v_lshlrev_b32_e32 v22, 3, v22
	v_mul_f32_e32 v2, 0x3d64c772, v2
	s_delay_alu instid0(VALU_DEP_4) | instskip(SKIP_3) | instid1(VALU_DEP_3)
	v_add_f32_e32 v20, v0, v16
	v_fmamk_f32 v0, v3, 0x3d64c772, v11
	v_dual_fmac_f32 v18, 0x3ee1c552, v4 :: v_dual_fmac_f32 v19, 0x3ee1c552, v7
	v_mul_f32_e32 v3, 0x3d64c772, v3
	v_add_f32_e32 v21, v0, v17
	s_delay_alu instid0(VALU_DEP_1) | instskip(SKIP_4) | instid1(VALU_DEP_3)
	v_dual_add_f32 v0, v20, v19 :: v_dual_sub_f32 v1, v21, v18
	ds_store_2addr_b64 v22, v[38:39], v[0:1] offset1:1
	v_sub_f32_e32 v0, v46, v12
	v_dual_sub_f32 v12, v48, v14 :: v_dual_sub_f32 v1, v47, v13
	v_sub_f32_e32 v13, v49, v15
	v_fma_f32 v2, 0x3f3bfb3b, v0, -v2
	v_fma_f32 v0, 0xbf3bfb3b, v0, -v10
	s_delay_alu instid0(VALU_DEP_4) | instskip(SKIP_3) | instid1(VALU_DEP_4)
	v_mul_f32_e32 v10, 0xbf5ff5aa, v12
	v_fma_f32 v3, 0x3f3bfb3b, v1, -v3
	v_fma_f32 v1, 0xbf3bfb3b, v1, -v11
	;; [unrolled: 1-line block ×3, first 2 shown]
	v_dual_add_f32 v11, v0, v16 :: v_dual_fmac_f32 v10, 0xbeae86e6, v6
	v_fma_f32 v6, 0x3f5ff5aa, v13, -v8
	v_mul_f32_e32 v8, 0xbf5ff5aa, v13
	s_delay_alu instid0(VALU_DEP_4)
	v_fmac_f32_e32 v5, 0x3ee1c552, v4
	v_fmamk_f32 v12, v63, 0xbf955555, v40
	v_fmac_f32_e32 v10, 0x3ee1c552, v4
	v_fmac_f32_e32 v6, 0x3ee1c552, v7
	v_dual_fmac_f32 v8, 0xbeae86e6, v9 :: v_dual_add_f32 v9, v2, v16
	v_dual_add_f32 v4, v1, v17 :: v_dual_fmamk_f32 v13, v64, 0xbf955555, v41
	s_delay_alu instid0(VALU_DEP_2) | instskip(NEXT) | instid1(VALU_DEP_2)
	v_dual_fmac_f32 v8, 0x3ee1c552, v7 :: v_dual_add_f32 v7, v3, v17
	v_sub_f32_e32 v1, v4, v10
	s_delay_alu instid0(VALU_DEP_4) | instskip(NEXT) | instid1(VALU_DEP_3)
	v_sub_f32_e32 v2, v9, v6
	v_add_f32_e32 v0, v8, v11
	s_delay_alu instid0(VALU_DEP_4)
	v_add_f32_e32 v3, v5, v7
	ds_store_2addr_b64 v22, v[0:1], v[2:3] offset0:2 offset1:3
	v_add_f32_e32 v0, v6, v9
	v_sub_f32_e32 v1, v7, v5
	v_sub_f32_e32 v2, v11, v8
	v_add_f32_e32 v3, v10, v4
	v_dual_sub_f32 v5, v56, v36 :: v_dual_sub_f32 v8, v57, v37
	v_add_f32_e32 v4, v56, v36
	v_sub_f32_e32 v6, v32, v56
	ds_store_2addr_b64 v22, v[0:1], v[2:3] offset0:4 offset1:5
	v_dual_sub_f32 v0, v20, v19 :: v_dual_add_f32 v1, v18, v21
	v_dual_sub_f32 v2, v54, v34 :: v_dual_sub_f32 v3, v55, v35
	v_add_f32_e32 v7, v57, v37
	v_sub_f32_e32 v9, v33, v57
	ds_store_b64 v22, v[0:1] offset:48
	v_dual_sub_f32 v0, v30, v54 :: v_dual_sub_f32 v1, v31, v55
	v_dual_mul_f32 v5, 0xbf08b237, v5 :: v_dual_mul_f32 v8, 0xbf08b237, v8
	v_add_f32_e32 v4, v4, v32
	s_delay_alu instid0(VALU_DEP_3) | instskip(NEXT) | instid1(VALU_DEP_3)
	v_dual_mul_f32 v10, 0x3f4a47b2, v0 :: v_dual_mul_f32 v11, 0x3f4a47b2, v1
	v_dual_add_f32 v7, v7, v33 :: v_dual_fmamk_f32 v16, v9, 0x3eae86e6, v8
	s_delay_alu instid0(VALU_DEP_4) | instskip(NEXT) | instid1(VALU_DEP_3)
	v_fmamk_f32 v17, v6, 0x3eae86e6, v5
	v_fmamk_f32 v0, v2, 0x3d64c772, v10
	v_mul_u32_u24_e32 v18, 7, v85
	v_mul_f32_e32 v2, 0x3d64c772, v2
	s_delay_alu instid0(VALU_DEP_4) | instskip(NEXT) | instid1(VALU_DEP_4)
	v_dual_fmac_f32 v16, 0x3ee1c552, v7 :: v_dual_fmac_f32 v17, 0x3ee1c552, v4
	v_add_f32_e32 v14, v0, v12
	v_fmamk_f32 v0, v3, 0x3d64c772, v11
	v_lshlrev_b32_e32 v20, 3, v18
	v_dual_sub_f32 v18, v36, v32 :: v_dual_sub_f32 v19, v37, v33
	v_mul_f32_e32 v3, 0x3d64c772, v3
	s_delay_alu instid0(VALU_DEP_4) | instskip(NEXT) | instid1(VALU_DEP_3)
	v_dual_add_f32 v15, v0, v13 :: v_dual_add_f32 v0, v14, v16
	v_fma_f32 v5, 0x3f5ff5aa, v18, -v5
	s_clause 0x1
	scratch_store_b32 off, v22, off offset:240
	scratch_store_b32 off, v20, off offset:236
	v_sub_f32_e32 v1, v15, v17
	v_fmac_f32_e32 v5, 0x3ee1c552, v4
	ds_store_2addr_b64 v20, v[40:41], v[0:1] offset1:1
	v_dual_sub_f32 v0, v34, v30 :: v_dual_sub_f32 v1, v35, v31
	v_and_b32_e32 v30, 0xff, v28
	s_delay_alu instid0(VALU_DEP_2) | instskip(SKIP_4) | instid1(VALU_DEP_3)
	v_fma_f32 v2, 0x3f3bfb3b, v0, -v2
	v_fma_f32 v0, 0xbf3bfb3b, v0, -v10
	v_mul_f32_e32 v10, 0xbf5ff5aa, v18
	v_fma_f32 v3, 0x3f3bfb3b, v1, -v3
	v_fma_f32 v1, 0xbf3bfb3b, v1, -v11
	v_dual_add_f32 v11, v0, v12 :: v_dual_fmac_f32 v10, 0xbeae86e6, v6
	v_fma_f32 v6, 0x3f5ff5aa, v19, -v8
	v_mul_f32_e32 v8, 0xbf5ff5aa, v19
	s_delay_alu instid0(VALU_DEP_3) | instskip(NEXT) | instid1(VALU_DEP_3)
	v_fmac_f32_e32 v10, 0x3ee1c552, v4
	v_fmac_f32_e32 v6, 0x3ee1c552, v7
	s_delay_alu instid0(VALU_DEP_3) | instskip(SKIP_1) | instid1(VALU_DEP_2)
	v_dual_fmac_f32 v8, 0xbeae86e6, v9 :: v_dual_add_f32 v9, v2, v12
	v_add_f32_e32 v12, v3, v13
	v_dual_add_f32 v13, v1, v13 :: v_dual_fmac_f32 v8, 0x3ee1c552, v7
	s_delay_alu instid0(VALU_DEP_3) | instskip(NEXT) | instid1(VALU_DEP_3)
	v_sub_f32_e32 v2, v9, v6
	v_add_f32_e32 v3, v5, v12
	s_delay_alu instid0(VALU_DEP_3)
	v_dual_sub_f32 v1, v13, v10 :: v_dual_add_f32 v0, v8, v11
	ds_store_2addr_b64 v20, v[0:1], v[2:3] offset0:2 offset1:3
	v_add_f32_e32 v0, v6, v9
	v_dual_sub_f32 v1, v12, v5 :: v_dual_sub_f32 v2, v11, v8
	v_add_f32_e32 v3, v10, v13
	s_clause 0x1
	scratch_store_b32 off, v65, off offset:248
	scratch_store_b32 off, v58, off offset:244
	ds_store_2addr_b64 v20, v[0:1], v[2:3] offset0:4 offset1:5
	v_dual_sub_f32 v0, v14, v16 :: v_dual_add_f32 v1, v17, v15
	ds_store_b64 v20, v[0:1] offset:48
	v_mul_lo_u16 v0, v30, 37
	global_wb scope:SCOPE_SE
	s_wait_storecnt_dscnt 0x0
	s_barrier_signal -1
	s_barrier_wait -1
	global_inv scope:SCOPE_SE
	v_lshrrev_b16 v0, 8, v0
	ds_load_2addr_b64 v[51:54], v165 offset0:48 offset1:244
	v_sub_nc_u16 v1, v28, v0
	s_delay_alu instid0(VALU_DEP_1) | instskip(NEXT) | instid1(VALU_DEP_1)
	v_lshrrev_b16 v1, 1, v1
	v_and_b32_e32 v1, 0x7f, v1
	s_delay_alu instid0(VALU_DEP_1) | instskip(SKIP_1) | instid1(VALU_DEP_1)
	v_add_nc_u16 v0, v1, v0
	v_and_b32_e32 v1, 0xffff, v29
	v_mul_u32_u24_e32 v1, 0x2493, v1
	s_delay_alu instid0(VALU_DEP_1) | instskip(NEXT) | instid1(VALU_DEP_1)
	v_lshrrev_b32_e32 v1, 16, v1
	v_sub_nc_u16 v2, v29, v1
	s_delay_alu instid0(VALU_DEP_1) | instskip(NEXT) | instid1(VALU_DEP_1)
	v_lshrrev_b16 v2, 1, v2
	v_add_nc_u16 v1, v2, v1
	v_lshrrev_b16 v2, 2, v0
	s_delay_alu instid0(VALU_DEP_2) | instskip(NEXT) | instid1(VALU_DEP_2)
	v_lshrrev_b16 v0, 2, v1
	v_mul_lo_u16 v1, v2, 7
	v_and_b32_e32 v2, 0xffff, v2
	s_delay_alu instid0(VALU_DEP_2) | instskip(NEXT) | instid1(VALU_DEP_4)
	v_sub_nc_u16 v3, v28, v1
	v_mul_lo_u16 v1, v0, 7
	s_delay_alu instid0(VALU_DEP_3) | instskip(NEXT) | instid1(VALU_DEP_3)
	v_mul_u32_u24_e32 v2, 28, v2
	v_and_b32_e32 v7, 0xff, v3
	s_delay_alu instid0(VALU_DEP_3) | instskip(NEXT) | instid1(VALU_DEP_2)
	v_sub_nc_u16 v1, v29, v1
	v_mad_co_u64_u32 v[12:13], null, v7, 24, s[10:11]
	s_delay_alu instid0(VALU_DEP_2) | instskip(SKIP_1) | instid1(VALU_DEP_2)
	v_mul_lo_u16 v3, v1, 24
	v_add_lshl_u32 v2, v2, v7, 3
	v_and_b32_e32 v3, 0xffff, v3
	global_load_b128 v[251:254], v[12:13], off
	scratch_store_b32 off, v2, off offset:312 ; 4-byte Folded Spill
	v_add_co_u32 v8, s12, s10, v3
	s_wait_alu 0xf1ff
	v_add_co_ci_u32_e64 v9, null, s11, 0, s12
	ds_load_2addr_b64 v[3:6], v182 offset0:56 offset1:252
	global_load_b128 v[225:228], v[8:9], off
	s_wait_loadcnt_dscnt 0x100
	v_mul_f32_e32 v10, v4, v254
	v_mul_f32_e32 v17, v3, v254
	s_delay_alu instid0(VALU_DEP_2) | instskip(NEXT) | instid1(VALU_DEP_2)
	v_fma_f32 v16, v3, v253, -v10
	v_fmac_f32_e32 v17, v4, v253
	s_wait_loadcnt 0x0
	v_mul_f32_e32 v3, v6, v228
	v_mul_f32_e32 v19, v5, v228
	s_delay_alu instid0(VALU_DEP_2) | instskip(SKIP_1) | instid1(VALU_DEP_3)
	v_fma_f32 v18, v5, v227, -v3
	v_and_b32_e32 v3, 0xffff, v84
	v_fmac_f32_e32 v19, v6, v227
	s_delay_alu instid0(VALU_DEP_2) | instskip(NEXT) | instid1(VALU_DEP_1)
	v_mul_u32_u24_e32 v3, 0x2493, v3
	v_lshrrev_b32_e32 v3, 16, v3
	s_delay_alu instid0(VALU_DEP_1) | instskip(NEXT) | instid1(VALU_DEP_1)
	v_sub_nc_u16 v4, v84, v3
	v_lshrrev_b16 v4, 1, v4
	s_delay_alu instid0(VALU_DEP_1) | instskip(NEXT) | instid1(VALU_DEP_1)
	v_add_nc_u16 v3, v4, v3
	v_lshrrev_b16 v26, 2, v3
	s_delay_alu instid0(VALU_DEP_1) | instskip(NEXT) | instid1(VALU_DEP_1)
	v_mul_lo_u16 v3, v26, 7
	v_sub_nc_u16 v27, v84, v3
	s_delay_alu instid0(VALU_DEP_1) | instskip(NEXT) | instid1(VALU_DEP_1)
	v_mul_lo_u16 v3, v27, 24
	v_and_b32_e32 v3, 0xffff, v3
	s_delay_alu instid0(VALU_DEP_1)
	v_add_co_u32 v10, s12, s10, v3
	s_wait_alu 0xf1ff
	v_add_co_ci_u32_e64 v11, null, s11, 0, s12
	ds_load_2addr_b64 v[3:6], v166 offset0:32 offset1:228
	global_load_b128 v[234:237], v[10:11], off
	s_wait_dscnt 0x0
	v_mul_f32_e32 v14, v4, v226
	v_mul_f32_e32 v68, v3, v226
	s_delay_alu instid0(VALU_DEP_2)
	v_fma_f32 v67, v3, v225, -v14
	s_clause 0x1
	global_load_b64 v[14:15], v[8:9], off offset:16
	global_load_b64 v[9:10], v[10:11], off offset:16
	s_wait_loadcnt 0x2
	v_dual_fmac_f32 v68, v4, v225 :: v_dual_mul_f32 v3, v6, v235
	v_mul_f32_e32 v70, v5, v235
	s_delay_alu instid0(VALU_DEP_2) | instskip(NEXT) | instid1(VALU_DEP_2)
	v_fma_f32 v69, v5, v234, -v3
	v_fmac_f32_e32 v70, v6, v234
	ds_load_2addr_b64 v[3:6], v167 offset0:24 offset1:220
	s_wait_loadcnt 0x1
	scratch_store_b64 off, v[14:15], off offset:260 ; 8-byte Folded Spill
	s_wait_loadcnt 0x0
	scratch_store_b64 off, v[9:10], off offset:252 ; 8-byte Folded Spill
	s_wait_dscnt 0x0
	v_mul_f32_e32 v8, v4, v15
	v_mul_f32_e32 v72, v3, v15
	;; [unrolled: 1-line block ×3, first 2 shown]
	s_delay_alu instid0(VALU_DEP_3) | instskip(SKIP_1) | instid1(VALU_DEP_4)
	v_fma_f32 v71, v3, v14, -v8
	v_mul_f32_e32 v3, v6, v10
	v_fmac_f32_e32 v72, v4, v14
	s_delay_alu instid0(VALU_DEP_4) | instskip(NEXT) | instid1(VALU_DEP_3)
	v_fmac_f32_e32 v74, v6, v9
	v_fma_f32 v73, v5, v9, -v3
	v_and_b32_e32 v3, 0xffff, v85
	ds_load_2addr_b64 v[8:11], v164 offset1:196
	v_mul_u32_u24_e32 v3, 0x2493, v3
	s_delay_alu instid0(VALU_DEP_1) | instskip(NEXT) | instid1(VALU_DEP_1)
	v_lshrrev_b32_e32 v3, 16, v3
	v_sub_nc_u16 v4, v85, v3
	s_delay_alu instid0(VALU_DEP_1) | instskip(SKIP_2) | instid1(VALU_DEP_2)
	v_lshrrev_b16 v4, 1, v4
	s_wait_dscnt 0x0
	v_mul_f32_e32 v76, v8, v237
	v_add_nc_u16 v3, v4, v3
	s_delay_alu instid0(VALU_DEP_2) | instskip(NEXT) | instid1(VALU_DEP_2)
	v_fmac_f32_e32 v76, v9, v236
	v_lshrrev_b16 v3, 2, v3
	s_delay_alu instid0(VALU_DEP_1) | instskip(NEXT) | instid1(VALU_DEP_1)
	v_mul_lo_u16 v4, v3, 7
	v_sub_nc_u16 v4, v85, v4
	s_delay_alu instid0(VALU_DEP_1) | instskip(SKIP_1) | instid1(VALU_DEP_2)
	v_mul_lo_u16 v5, v4, 24
	v_mad_u16 v4, v3, 28, v4
	v_and_b32_e32 v5, 0xffff, v5
	s_delay_alu instid0(VALU_DEP_2) | instskip(NEXT) | instid1(VALU_DEP_2)
	v_and_b32_e32 v4, 0xffff, v4
	v_add_co_u32 v14, s12, s10, v5
	s_wait_alu 0xf1ff
	v_add_co_ci_u32_e64 v15, null, s11, 0, s12
	s_delay_alu instid0(VALU_DEP_3)
	v_dual_mul_f32 v5, v9, v237 :: v_dual_lshlrev_b32 v4, 3, v4
	global_load_b128 v[221:224], v[14:15], off
	v_fma_f32 v75, v8, v236, -v5
	s_wait_loadcnt 0x0
	v_mul_f32_e32 v5, v11, v224
	v_mul_f32_e32 v34, v10, v224
	s_delay_alu instid0(VALU_DEP_2) | instskip(NEXT) | instid1(VALU_DEP_2)
	v_fma_f32 v33, v10, v223, -v5
	v_dual_fmac_f32 v34, v11, v223 :: v_dual_and_b32 v5, 0xffff, v88
	s_delay_alu instid0(VALU_DEP_1) | instskip(NEXT) | instid1(VALU_DEP_1)
	v_mul_u32_u24_e32 v5, 0x2493, v5
	v_lshrrev_b32_e32 v5, 16, v5
	s_delay_alu instid0(VALU_DEP_1) | instskip(NEXT) | instid1(VALU_DEP_1)
	v_sub_nc_u16 v6, v88, v5
	v_lshrrev_b16 v6, 1, v6
	s_delay_alu instid0(VALU_DEP_1) | instskip(NEXT) | instid1(VALU_DEP_1)
	v_add_nc_u16 v5, v6, v5
	v_lshrrev_b16 v5, 2, v5
	s_delay_alu instid0(VALU_DEP_1) | instskip(NEXT) | instid1(VALU_DEP_1)
	v_mul_lo_u16 v6, v5, 7
	v_sub_nc_u16 v6, v88, v6
	s_delay_alu instid0(VALU_DEP_1) | instskip(NEXT) | instid1(VALU_DEP_1)
	v_mul_lo_u16 v8, v6, 24
	v_and_b32_e32 v8, 0xffff, v8
	s_delay_alu instid0(VALU_DEP_1)
	v_add_co_u32 v20, s12, s10, v8
	s_wait_alu 0xf1ff
	v_add_co_ci_u32_e64 v21, null, s11, 0, s12
	ds_load_2addr_b64 v[8:11], v181 offset0:40 offset1:236
	global_load_b128 v[209:212], v[20:21], off
	s_wait_dscnt 0x0
	v_mul_f32_e32 v22, v9, v222
	v_mul_f32_e32 v38, v8, v222
	s_delay_alu instid0(VALU_DEP_2)
	v_fma_f32 v37, v8, v221, -v22
	s_clause 0x1
	global_load_b64 v[22:23], v[14:15], off offset:16
	global_load_b64 v[20:21], v[20:21], off offset:16
	v_fmac_f32_e32 v38, v9, v221
	s_wait_loadcnt 0x2
	v_mul_f32_e32 v8, v11, v210
	v_mul_f32_e32 v32, v10, v210
	s_delay_alu instid0(VALU_DEP_2) | instskip(NEXT) | instid1(VALU_DEP_2)
	v_fma_f32 v31, v10, v209, -v8
	v_fmac_f32_e32 v32, v11, v209
	ds_load_2addr_b64 v[8:11], v161 offset0:32 offset1:228
	s_wait_loadcnt 0x1
	scratch_store_b64 off, v[22:23], off offset:276 ; 8-byte Folded Spill
	s_wait_loadcnt 0x0
	scratch_store_b64 off, v[20:21], off offset:268 ; 8-byte Folded Spill
	s_wait_dscnt 0x0
	v_mul_f32_e32 v14, v9, v23
	v_mul_f32_e32 v46, v8, v23
	;; [unrolled: 1-line block ×3, first 2 shown]
	s_delay_alu instid0(VALU_DEP_3) | instskip(SKIP_1) | instid1(VALU_DEP_4)
	v_fma_f32 v45, v8, v22, -v14
	v_mul_f32_e32 v8, v11, v21
	v_fmac_f32_e32 v46, v9, v22
	ds_load_2addr_b64 v[22:25], v180 offset0:8 offset1:204
	v_fmac_f32_e32 v40, v11, v20
	v_fma_f32 v39, v10, v20, -v8
	v_and_b32_e32 v8, 0xffff, v92
	s_delay_alu instid0(VALU_DEP_1) | instskip(NEXT) | instid1(VALU_DEP_1)
	v_mul_u32_u24_e32 v8, 0x2493, v8
	v_lshrrev_b32_e32 v8, 16, v8
	s_delay_alu instid0(VALU_DEP_1) | instskip(SKIP_2) | instid1(VALU_DEP_2)
	v_sub_nc_u16 v9, v92, v8
	s_wait_dscnt 0x0
	v_mul_f32_e32 v50, v22, v212
	v_lshrrev_b16 v9, 1, v9
	s_delay_alu instid0(VALU_DEP_2) | instskip(NEXT) | instid1(VALU_DEP_2)
	v_fmac_f32_e32 v50, v23, v211
	v_add_nc_u16 v8, v9, v8
	s_delay_alu instid0(VALU_DEP_1) | instskip(NEXT) | instid1(VALU_DEP_1)
	v_lshrrev_b16 v8, 2, v8
	v_mul_lo_u16 v9, v8, 7
	s_delay_alu instid0(VALU_DEP_1) | instskip(NEXT) | instid1(VALU_DEP_1)
	v_sub_nc_u16 v9, v92, v9
	v_mul_lo_u16 v10, v9, 24
	v_mad_u16 v8, v8, 28, v9
	s_delay_alu instid0(VALU_DEP_2) | instskip(NEXT) | instid1(VALU_DEP_2)
	v_and_b32_e32 v10, 0xffff, v10
	v_and_b32_e32 v8, 0xffff, v8
	s_delay_alu instid0(VALU_DEP_2)
	v_add_co_u32 v14, s12, s10, v10
	s_wait_alu 0xf1ff
	v_add_co_ci_u32_e64 v15, null, s11, 0, s12
	v_mul_f32_e32 v10, v23, v212
	v_lshlrev_b32_e32 v8, 3, v8
	global_load_b128 v[213:216], v[14:15], off
	v_fma_f32 v49, v22, v211, -v10
	global_load_b64 v[22:23], v[14:15], off offset:16
	s_wait_loadcnt 0x1
	v_mul_f32_e32 v10, v25, v216
	v_mul_f32_e32 v36, v24, v216
	;; [unrolled: 1-line block ×3, first 2 shown]
	s_delay_alu instid0(VALU_DEP_3) | instskip(SKIP_1) | instid1(VALU_DEP_4)
	v_fma_f32 v35, v24, v215, -v10
	v_and_b32_e32 v10, 0xffff, v96
	v_fmac_f32_e32 v36, v25, v215
	s_delay_alu instid0(VALU_DEP_4) | instskip(NEXT) | instid1(VALU_DEP_3)
	v_fmac_f32_e32 v44, v52, v213
	v_mul_u32_u24_e32 v10, 0x2493, v10
	s_delay_alu instid0(VALU_DEP_1) | instskip(NEXT) | instid1(VALU_DEP_1)
	v_lshrrev_b32_e32 v10, 16, v10
	v_sub_nc_u16 v11, v96, v10
	s_delay_alu instid0(VALU_DEP_1) | instskip(NEXT) | instid1(VALU_DEP_1)
	v_lshrrev_b16 v11, 1, v11
	v_add_nc_u16 v10, v11, v10
	s_delay_alu instid0(VALU_DEP_1) | instskip(NEXT) | instid1(VALU_DEP_1)
	v_lshrrev_b16 v10, 2, v10
	v_mul_lo_u16 v11, v10, 7
	s_delay_alu instid0(VALU_DEP_1) | instskip(NEXT) | instid1(VALU_DEP_1)
	v_sub_nc_u16 v11, v96, v11
	v_mul_lo_u16 v20, v11, 24
	s_delay_alu instid0(VALU_DEP_1) | instskip(NEXT) | instid1(VALU_DEP_1)
	v_and_b32_e32 v20, 0xffff, v20
	v_add_co_u32 v55, s12, s10, v20
	s_wait_alu 0xf1ff
	v_add_co_ci_u32_e64 v56, null, s11, 0, s12
	v_mul_f32_e32 v20, v52, v214
	s_clause 0x1
	global_load_b128 v[205:208], v[55:56], off
	global_load_b64 v[24:25], v[55:56], off offset:16
	v_fma_f32 v43, v51, v213, -v20
	s_wait_loadcnt 0x2
	scratch_store_b64 off, v[22:23], off offset:292 ; 8-byte Folded Spill
	s_wait_loadcnt 0x1
	v_mul_f32_e32 v20, v54, v206
	v_mul_f32_e32 v42, v53, v206
	s_wait_loadcnt 0x0
	scratch_store_b64 off, v[24:25], off offset:300 ; 8-byte Folded Spill
	v_fma_f32 v41, v53, v205, -v20
	global_load_b64 v[20:21], v[12:13], off offset:16
	v_fmac_f32_e32 v42, v54, v205
	ds_load_2addr_b64 v[51:54], v163 offset0:16 offset1:212
	s_wait_dscnt 0x0
	v_mul_f32_e32 v48, v51, v208
	s_delay_alu instid0(VALU_DEP_1)
	v_fmac_f32_e32 v48, v52, v207
	s_wait_loadcnt 0x0
	v_mul_f32_e32 v12, v54, v21
	v_mul_f32_e32 v13, v53, v21
	scratch_store_b64 off, v[20:21], off offset:284 ; 8-byte Folded Spill
	v_fma_f32 v12, v53, v20, -v12
	v_fmac_f32_e32 v13, v54, v20
	v_mul_f32_e32 v20, v52, v208
	s_delay_alu instid0(VALU_DEP_1)
	v_fma_f32 v47, v51, v207, -v20
	ds_load_2addr_b64 v[51:54], v162 offset0:40 offset1:236
	s_wait_dscnt 0x0
	v_mul_f32_e32 v14, v52, v23
	v_mul_f32_e32 v21, v51, v23
	;; [unrolled: 1-line block ×3, first 2 shown]
	s_delay_alu instid0(VALU_DEP_3) | instskip(NEXT) | instid1(VALU_DEP_3)
	v_fma_f32 v20, v51, v22, -v14
	v_dual_mul_f32 v14, v54, v25 :: v_dual_fmac_f32 v21, v52, v22
	s_delay_alu instid0(VALU_DEP_3) | instskip(NEXT) | instid1(VALU_DEP_2)
	v_fmac_f32_e32 v23, v54, v24
	v_fma_f32 v22, v53, v24, -v14
	ds_load_2addr_b64 v[51:54], v158 offset0:24 offset1:220
	s_wait_dscnt 0x0
	v_mul_f32_e32 v14, v54, v252
	v_mul_f32_e32 v15, v53, v252
	s_delay_alu instid0(VALU_DEP_2) | instskip(NEXT) | instid1(VALU_DEP_2)
	v_fma_f32 v14, v53, v251, -v14
	v_fmac_f32_e32 v15, v54, v251
	ds_load_2addr_b64 v[53:56], v233 offset1:196
	ds_load_2addr_b64 v[57:60], v243 offset0:8 offset1:204
	ds_load_2addr_b64 v[61:64], v231 offset0:16 offset1:212
	global_wb scope:SCOPE_SE
	s_wait_storecnt_dscnt 0x0
	v_dual_sub_f32 v24, v14, v12 :: v_dual_sub_f32 v25, v15, v13
	s_barrier_signal -1
	s_barrier_wait -1
	global_inv scope:SCOPE_SE
	v_fma_f32 v12, v14, 2.0, -v24
	v_fma_f32 v13, v15, 2.0, -v25
	v_dual_sub_f32 v16, v53, v16 :: v_dual_sub_f32 v17, v54, v17
	v_sub_f32_e32 v7, v56, v19
	s_delay_alu instid0(VALU_DEP_2) | instskip(NEXT) | instid1(VALU_DEP_3)
	v_fma_f32 v53, v53, 2.0, -v16
	v_fma_f32 v54, v54, 2.0, -v17
	v_dual_sub_f32 v14, v16, v25 :: v_dual_add_f32 v15, v17, v24
	s_delay_alu instid0(VALU_DEP_2) | instskip(NEXT) | instid1(VALU_DEP_2)
	v_dual_sub_f32 v12, v53, v12 :: v_dual_sub_f32 v13, v54, v13
	v_fma_f32 v65, v16, 2.0, -v14
	s_delay_alu instid0(VALU_DEP_3) | instskip(SKIP_1) | instid1(VALU_DEP_4)
	v_fma_f32 v66, v17, 2.0, -v15
	v_fma_f32 v17, v56, 2.0, -v7
	;; [unrolled: 1-line block ×4, first 2 shown]
	ds_store_2addr_b64 v2, v[53:54], v[65:66] offset1:7
	ds_store_2addr_b64 v2, v[12:13], v[14:15] offset0:14 offset1:21
	v_sub_f32_e32 v2, v55, v18
	v_dual_sub_f32 v15, v67, v71 :: v_dual_sub_f32 v14, v68, v72
	v_mad_u16 v18, v0, 28, v1
	s_delay_alu instid0(VALU_DEP_3) | instskip(NEXT) | instid1(VALU_DEP_3)
	v_fma_f32 v16, v55, 2.0, -v2
	v_fma_f32 v12, v67, 2.0, -v15
	s_delay_alu instid0(VALU_DEP_4) | instskip(SKIP_1) | instid1(VALU_DEP_2)
	v_fma_f32 v13, v68, 2.0, -v14
	v_dual_sub_f32 v14, v2, v14 :: v_dual_add_f32 v15, v7, v15
	v_dual_sub_f32 v12, v16, v12 :: v_dual_sub_f32 v13, v17, v13
	s_delay_alu instid0(VALU_DEP_2) | instskip(SKIP_1) | instid1(VALU_DEP_4)
	v_fma_f32 v53, v2, 2.0, -v14
	v_and_b32_e32 v2, 0xffff, v18
	v_fma_f32 v54, v7, 2.0, -v15
	s_delay_alu instid0(VALU_DEP_4)
	v_fma_f32 v0, v16, 2.0, -v12
	v_fma_f32 v1, v17, 2.0, -v13
	v_sub_f32_e32 v7, v70, v74
	v_lshlrev_b32_e32 v2, 3, v2
	v_dual_sub_f32 v16, v57, v75 :: v_dual_sub_f32 v17, v58, v76
	scratch_store_b32 off, v2, off offset:308 ; 4-byte Folded Spill
	ds_store_2addr_b64 v2, v[0:1], v[53:54] offset1:7
	ds_store_2addr_b64 v2, v[12:13], v[14:15] offset0:14 offset1:21
	v_sub_f32_e32 v2, v69, v73
	v_fma_f32 v1, v70, 2.0, -v7
	v_fma_f32 v14, v57, 2.0, -v16
	;; [unrolled: 1-line block ×3, first 2 shown]
	v_sub_f32_e32 v12, v16, v7
	v_fma_f32 v0, v69, 2.0, -v2
	v_add_f32_e32 v13, v17, v2
	v_mad_u16 v2, v26, 28, v27
	v_sub_f32_e32 v1, v15, v1
	v_fma_f32 v53, v16, 2.0, -v12
	v_sub_f32_e32 v0, v14, v0
	v_fma_f32 v54, v17, 2.0, -v13
	v_and_b32_e32 v2, 0xffff, v2
	v_fma_f32 v15, v15, 2.0, -v1
	v_sub_f32_e32 v7, v59, v33
	v_fma_f32 v14, v14, 2.0, -v0
	scratch_store_b32 off, v4, off offset:328 ; 4-byte Folded Spill
	v_dual_mov_b32 v33, v167 :: v_dual_lshlrev_b32 v2, 3, v2
	ds_store_2addr_b64 v2, v[14:15], v[53:54] offset1:7
	ds_store_2addr_b64 v2, v[0:1], v[12:13] offset0:14 offset1:21
	v_sub_f32_e32 v15, v60, v34
	v_dual_sub_f32 v13, v37, v45 :: v_dual_sub_f32 v12, v38, v46
	scratch_store_b32 off, v2, off offset:332 ; 4-byte Folded Spill
	v_fma_f32 v2, v59, 2.0, -v7
	v_fma_f32 v14, v60, 2.0, -v15
	;; [unrolled: 1-line block ×4, first 2 shown]
	v_sub_f32_e32 v12, v7, v12
	v_dual_add_f32 v13, v15, v13 :: v_dual_mov_b32 v34, v181
	s_delay_alu instid0(VALU_DEP_4) | instskip(NEXT) | instid1(VALU_DEP_4)
	v_sub_f32_e32 v0, v2, v0
	v_sub_f32_e32 v1, v14, v1
	s_delay_alu instid0(VALU_DEP_3) | instskip(NEXT) | instid1(VALU_DEP_3)
	v_fma_f32 v15, v15, 2.0, -v13
	v_fma_f32 v2, v2, 2.0, -v0
	s_delay_alu instid0(VALU_DEP_3)
	v_fma_f32 v3, v14, 2.0, -v1
	v_fma_f32 v14, v7, 2.0, -v12
	ds_store_2addr_b64 v4, v[2:3], v[14:15] offset1:7
	ds_store_2addr_b64 v4, v[0:1], v[12:13] offset0:14 offset1:21
	v_dual_sub_f32 v3, v31, v39 :: v_dual_sub_f32 v2, v32, v40
	v_dual_sub_f32 v7, v61, v49 :: v_dual_sub_f32 v12, v62, v50
	v_mad_u16 v14, v5, 28, v6
	s_delay_alu instid0(VALU_DEP_3) | instskip(NEXT) | instid1(VALU_DEP_4)
	v_fma_f32 v0, v31, 2.0, -v3
	v_fma_f32 v1, v32, 2.0, -v2
	s_delay_alu instid0(VALU_DEP_4) | instskip(SKIP_3) | instid1(VALU_DEP_3)
	v_fma_f32 v4, v61, 2.0, -v7
	v_fma_f32 v13, v62, 2.0, -v12
	v_dual_sub_f32 v2, v7, v2 :: v_dual_add_f32 v3, v12, v3
	v_mov_b32_e32 v32, v162
	v_dual_sub_f32 v0, v4, v0 :: v_dual_sub_f32 v1, v13, v1
	s_delay_alu instid0(VALU_DEP_3) | instskip(NEXT) | instid1(VALU_DEP_4)
	v_fma_f32 v6, v7, 2.0, -v2
	v_fma_f32 v7, v12, 2.0, -v3
	v_and_b32_e32 v12, 0xffff, v14
	s_delay_alu instid0(VALU_DEP_4) | instskip(SKIP_1) | instid1(VALU_DEP_3)
	v_fma_f32 v4, v4, 2.0, -v0
	v_fma_f32 v5, v13, 2.0, -v1
	v_lshlrev_b32_e32 v12, 3, v12
	scratch_store_b32 off, v12, off offset:324 ; 4-byte Folded Spill
	ds_store_2addr_b64 v12, v[4:5], v[6:7] offset1:7
	ds_store_2addr_b64 v12, v[0:1], v[2:3] offset0:14 offset1:21
	v_dual_sub_f32 v6, v63, v35 :: v_dual_sub_f32 v7, v64, v36
	v_dual_sub_f32 v3, v43, v20 :: v_dual_sub_f32 v2, v44, v21
	scratch_store_b32 off, v8, off offset:320 ; 4-byte Folded Spill
	v_fma_f32 v4, v63, 2.0, -v6
	v_fma_f32 v5, v64, 2.0, -v7
	;; [unrolled: 1-line block ×4, first 2 shown]
	v_dual_sub_f32 v2, v6, v2 :: v_dual_add_f32 v3, v7, v3
	s_delay_alu instid0(VALU_DEP_2) | instskip(NEXT) | instid1(VALU_DEP_2)
	v_dual_sub_f32 v0, v4, v0 :: v_dual_sub_f32 v1, v5, v1
	v_fma_f32 v6, v6, 2.0, -v2
	s_delay_alu instid0(VALU_DEP_3) | instskip(NEXT) | instid1(VALU_DEP_3)
	v_fma_f32 v7, v7, 2.0, -v3
	v_fma_f32 v4, v4, 2.0, -v0
	s_delay_alu instid0(VALU_DEP_4)
	v_fma_f32 v5, v5, 2.0, -v1
	ds_store_2addr_b64 v8, v[4:5], v[6:7] offset1:7
	ds_store_2addr_b64 v8, v[0:1], v[2:3] offset0:14 offset1:21
	v_dual_sub_f32 v6, v51, v47 :: v_dual_sub_f32 v7, v52, v48
	v_dual_sub_f32 v3, v41, v22 :: v_dual_sub_f32 v2, v42, v23
	v_mad_u16 v8, v10, 28, v11
	s_delay_alu instid0(VALU_DEP_3) | instskip(NEXT) | instid1(VALU_DEP_4)
	v_fma_f32 v4, v51, 2.0, -v6
	v_fma_f32 v5, v52, 2.0, -v7
	s_delay_alu instid0(VALU_DEP_4) | instskip(SKIP_3) | instid1(VALU_DEP_3)
	v_fma_f32 v0, v41, 2.0, -v3
	v_fma_f32 v1, v42, 2.0, -v2
	v_dual_sub_f32 v2, v6, v2 :: v_dual_add_f32 v3, v7, v3
	v_and_b32_e32 v8, 0xffff, v8
	v_dual_sub_f32 v0, v4, v0 :: v_dual_sub_f32 v1, v5, v1
	s_delay_alu instid0(VALU_DEP_3) | instskip(NEXT) | instid1(VALU_DEP_4)
	v_fma_f32 v6, v6, 2.0, -v2
	v_fma_f32 v7, v7, 2.0, -v3
	s_delay_alu instid0(VALU_DEP_4) | instskip(NEXT) | instid1(VALU_DEP_4)
	v_lshlrev_b32_e32 v8, 3, v8
	v_fma_f32 v4, v4, 2.0, -v0
	v_fma_f32 v5, v5, 2.0, -v1
	scratch_store_b32 off, v8, off offset:316 ; 4-byte Folded Spill
	ds_store_2addr_b64 v8, v[4:5], v[6:7] offset1:7
	ds_store_2addr_b64 v8, v[0:1], v[2:3] offset0:14 offset1:21
	v_lshrrev_b16 v1, 2, v29
	v_lshrrev_b16 v0, 2, v30
	global_wb scope:SCOPE_SE
	s_wait_storecnt_dscnt 0x0
	s_barrier_signal -1
	s_barrier_wait -1
	v_and_b32_e32 v1, 0xffff, v1
	v_mul_lo_u16 v0, v0, 37
	global_inv scope:SCOPE_SE
	ds_load_2addr_b64 v[153:156], v243 offset0:8 offset1:204
	v_mul_u32_u24_e32 v1, 0x4925, v1
	v_lshrrev_b16 v108, 8, v0
	s_delay_alu instid0(VALU_DEP_2) | instskip(NEXT) | instid1(VALU_DEP_2)
	v_lshrrev_b32_e32 v91, 17, v1
	v_mul_lo_u16 v0, v108, 28
	s_delay_alu instid0(VALU_DEP_2) | instskip(NEXT) | instid1(VALU_DEP_2)
	v_mul_lo_u16 v1, v91, 28
	v_sub_nc_u16 v0, v28, v0
	v_mov_b32_e32 v160, v78
	s_delay_alu instid0(VALU_DEP_3) | instskip(NEXT) | instid1(VALU_DEP_3)
	v_sub_nc_u16 v93, v29, v1
	v_and_b32_e32 v107, 0xff, v0
	s_delay_alu instid0(VALU_DEP_2) | instskip(NEXT) | instid1(VALU_DEP_2)
	v_mul_lo_u16 v0, v93, 48
	v_mad_co_u64_u32 v[6:7], null, v107, 48, s[10:11]
	s_delay_alu instid0(VALU_DEP_2)
	v_and_b32_e32 v0, 0xffff, v0
	global_load_b128 v[176:179], v[6:7], off offset:168
	v_add_co_u32 v4, s12, s10, v0
	s_wait_alu 0xf1ff
	v_add_co_ci_u32_e64 v5, null, s11, 0, s12
	s_clause 0x1
	global_load_b128 v[68:71], v[6:7], off offset:184
	global_load_b128 v[60:63], v[6:7], off offset:200
	ds_load_2addr_b64 v[0:3], v231 offset0:16 offset1:212
	s_clause 0x2
	global_load_b128 v[72:75], v[4:5], off offset:168
	global_load_b128 v[64:67], v[4:5], off offset:184
	;; [unrolled: 1-line block ×3, first 2 shown]
	s_wait_loadcnt_dscnt 0x500
	v_mul_f32_e32 v8, v1, v177
	v_mul_f32_e32 v11, v0, v177
	s_delay_alu instid0(VALU_DEP_2) | instskip(SKIP_1) | instid1(VALU_DEP_2)
	v_fma_f32 v10, v0, v176, -v8
	s_wait_loadcnt 0x2
	v_dual_fmac_f32 v11, v1, v176 :: v_dual_mul_f32 v0, v3, v73
	v_mul_f32_e32 v110, v2, v73
	s_delay_alu instid0(VALU_DEP_2) | instskip(NEXT) | instid1(VALU_DEP_2)
	v_fma_f32 v112, v2, v72, -v0
	v_fmac_f32_e32 v110, v3, v72
	ds_load_2addr_b64 v[0:3], v166 offset0:32 offset1:228
	s_wait_dscnt 0x0
	v_mul_f32_e32 v8, v1, v179
	v_mul_f32_e32 v13, v0, v179
	v_mul_f32_e32 v113, v2, v75
	s_delay_alu instid0(VALU_DEP_3) | instskip(NEXT) | instid1(VALU_DEP_3)
	v_fma_f32 v12, v0, v178, -v8
	v_dual_mul_f32 v0, v3, v75 :: v_dual_fmac_f32 v13, v1, v178
	s_delay_alu instid0(VALU_DEP_3) | instskip(NEXT) | instid1(VALU_DEP_2)
	v_fmac_f32_e32 v113, v3, v74
	v_fma_f32 v114, v2, v74, -v0
	ds_load_2addr_b64 v[0:3], v165 offset0:48 offset1:244
	s_wait_dscnt 0x0
	v_mul_f32_e32 v8, v1, v69
	v_mul_f32_e32 v15, v0, v69
	s_wait_loadcnt 0x1
	v_mul_f32_e32 v117, v2, v65
	s_delay_alu instid0(VALU_DEP_3) | instskip(NEXT) | instid1(VALU_DEP_3)
	v_fma_f32 v14, v0, v68, -v8
	v_dual_mul_f32 v0, v3, v65 :: v_dual_fmac_f32 v15, v1, v68
	s_delay_alu instid0(VALU_DEP_3) | instskip(NEXT) | instid1(VALU_DEP_2)
	v_fmac_f32_e32 v117, v3, v64
	v_fma_f32 v118, v2, v64, -v0
	ds_load_2addr_b64 v[0:3], v164 offset1:196
	s_wait_dscnt 0x0
	v_mul_f32_e32 v8, v1, v71
	v_mul_f32_e32 v17, v0, v71
	;; [unrolled: 1-line block ×3, first 2 shown]
	s_delay_alu instid0(VALU_DEP_3) | instskip(NEXT) | instid1(VALU_DEP_3)
	v_fma_f32 v16, v0, v70, -v8
	v_dual_mul_f32 v0, v3, v67 :: v_dual_fmac_f32 v17, v1, v70
	s_delay_alu instid0(VALU_DEP_2) | instskip(NEXT) | instid1(VALU_DEP_2)
	v_dual_fmac_f32 v120, v3, v66 :: v_dual_add_f32 v151, v14, v16
	v_fma_f32 v122, v2, v66, -v0
	ds_load_2addr_b64 v[0:3], v163 offset0:16 offset1:212
	v_add_f32_e32 v150, v117, v120
	v_sub_f32_e32 v14, v16, v14
	v_and_b32_e32 v16, 0xffff, v108
	s_delay_alu instid0(VALU_DEP_1) | instskip(NEXT) | instid1(VALU_DEP_1)
	v_mul_u32_u24_e32 v16, 0xc4, v16
	v_add_lshl_u32 v31, v16, v107, 3
	s_wait_dscnt 0x0
	v_mul_f32_e32 v6, v1, v61
	v_mul_f32_e32 v19, v0, v61
	s_wait_loadcnt 0x0
	v_mul_f32_e32 v124, v2, v57
	s_delay_alu instid0(VALU_DEP_3) | instskip(NEXT) | instid1(VALU_DEP_3)
	v_fma_f32 v18, v0, v60, -v6
	v_dual_mul_f32 v0, v3, v57 :: v_dual_fmac_f32 v19, v1, v60
	s_delay_alu instid0(VALU_DEP_3) | instskip(NEXT) | instid1(VALU_DEP_2)
	v_fmac_f32_e32 v124, v3, v56
	v_fma_f32 v126, v2, v56, -v0
	ds_load_2addr_b64 v[0:3], v161 offset0:32 offset1:228
	v_add_f32_e32 v30, v13, v19
	v_add_f32_e32 v148, v113, v124
	v_dual_sub_f32 v13, v13, v19 :: v_dual_add_f32 v144, v114, v126
	s_wait_dscnt 0x0
	v_mul_f32_e32 v4, v1, v63
	v_mul_f32_e32 v21, v0, v63
	v_mul_f32_e32 v127, v2, v59
	s_delay_alu instid0(VALU_DEP_3) | instskip(NEXT) | instid1(VALU_DEP_3)
	v_fma_f32 v20, v0, v62, -v4
	v_dual_mul_f32 v0, v3, v59 :: v_dual_fmac_f32 v21, v1, v62
	s_delay_alu instid0(VALU_DEP_3) | instskip(NEXT) | instid1(VALU_DEP_3)
	v_fmac_f32_e32 v127, v3, v58
	v_add_f32_e32 v145, v10, v20
	s_delay_alu instid0(VALU_DEP_3) | instskip(SKIP_2) | instid1(VALU_DEP_3)
	v_fma_f32 v128, v2, v58, -v0
	v_lshrrev_b16 v0, 2, v84
	v_sub_f32_e32 v10, v10, v20
	v_add_f32_e32 v143, v112, v128
	s_delay_alu instid0(VALU_DEP_3) | instskip(SKIP_1) | instid1(VALU_DEP_1)
	v_and_b32_e32 v87, 0xffff, v0
	v_lshrrev_b16 v0, 2, v85
	v_and_b32_e32 v86, 0xffff, v0
	s_delay_alu instid0(VALU_DEP_3) | instskip(NEXT) | instid1(VALU_DEP_1)
	v_mul_u32_u24_e32 v0, 0x4925, v87
	v_lshrrev_b32_e32 v109, 17, v0
	s_delay_alu instid0(VALU_DEP_3) | instskip(NEXT) | instid1(VALU_DEP_1)
	v_mul_u32_u24_e32 v0, 0x4925, v86
	v_lshrrev_b32_e32 v89, 17, v0
	s_delay_alu instid0(VALU_DEP_3) | instskip(NEXT) | instid1(VALU_DEP_1)
	v_mul_lo_u16 v0, v109, 28
	v_sub_nc_u16 v111, v84, v0
	s_delay_alu instid0(VALU_DEP_3) | instskip(NEXT) | instid1(VALU_DEP_1)
	v_mul_lo_u16 v0, v89, 28
	v_sub_nc_u16 v90, v85, v0
	s_delay_alu instid0(VALU_DEP_3) | instskip(NEXT) | instid1(VALU_DEP_2)
	v_mul_lo_u16 v0, v111, 48
	v_mul_lo_u16 v1, v90, 48
	s_delay_alu instid0(VALU_DEP_2) | instskip(NEXT) | instid1(VALU_DEP_2)
	v_and_b32_e32 v0, 0xffff, v0
	v_and_b32_e32 v1, 0xffff, v1
	s_delay_alu instid0(VALU_DEP_2) | instskip(SKIP_2) | instid1(VALU_DEP_3)
	v_add_co_u32 v4, s12, s10, v0
	s_wait_alu 0xf1ff
	v_add_co_ci_u32_e64 v5, null, s11, 0, s12
	v_add_co_u32 v6, s12, s10, v1
	s_wait_alu 0xf1ff
	v_add_co_ci_u32_e64 v7, null, s11, 0, s12
	s_clause 0x5
	global_load_b128 v[44:47], v[4:5], off offset:168
	global_load_b128 v[48:51], v[4:5], off offset:184
	global_load_b128 v[168:171], v[4:5], off offset:200
	global_load_b128 v[172:175], v[6:7], off offset:168
	global_load_b128 v[191:194], v[6:7], off offset:184
	global_load_b128 v[52:55], v[6:7], off offset:200
	ds_load_2addr_b64 v[0:3], v158 offset0:24 offset1:220
	v_add_f32_e32 v7, v15, v17
	v_sub_f32_e32 v15, v17, v15
	s_delay_alu instid0(VALU_DEP_1)
	v_add_f32_e32 v20, v15, v13
	s_wait_loadcnt_dscnt 0x500
	v_mul_f32_e32 v8, v1, v45
	v_mul_f32_e32 v115, v0, v45
	s_wait_loadcnt 0x2
	v_mul_f32_e32 v94, v2, v173
	s_delay_alu instid0(VALU_DEP_3) | instskip(NEXT) | instid1(VALU_DEP_3)
	v_fma_f32 v116, v0, v44, -v8
	v_dual_mul_f32 v0, v3, v173 :: v_dual_fmac_f32 v115, v1, v44
	s_delay_alu instid0(VALU_DEP_3) | instskip(NEXT) | instid1(VALU_DEP_2)
	v_fmac_f32_e32 v94, v3, v172
	v_fma_f32 v95, v2, v172, -v0
	ds_load_2addr_b64 v[0:3], v181 offset0:40 offset1:236
	s_wait_dscnt 0x0
	v_mul_f32_e32 v8, v1, v47
	v_mul_f32_e32 v119, v0, v47
	;; [unrolled: 1-line block ×3, first 2 shown]
	s_delay_alu instid0(VALU_DEP_3) | instskip(NEXT) | instid1(VALU_DEP_3)
	v_fma_f32 v121, v0, v46, -v8
	v_dual_mul_f32 v0, v3, v175 :: v_dual_fmac_f32 v119, v1, v46
	s_delay_alu instid0(VALU_DEP_3) | instskip(NEXT) | instid1(VALU_DEP_2)
	v_fmac_f32_e32 v97, v3, v174
	v_fma_f32 v98, v2, v174, -v0
	ds_load_2addr_b64 v[0:3], v182 offset0:56 offset1:252
	s_wait_dscnt 0x0
	v_mul_f32_e32 v8, v1, v49
	v_mul_f32_e32 v123, v0, v49
	s_wait_loadcnt 0x1
	v_mul_f32_e32 v99, v2, v192
	s_delay_alu instid0(VALU_DEP_3) | instskip(SKIP_2) | instid1(VALU_DEP_4)
	v_fma_f32 v125, v0, v48, -v8
	v_mul_f32_e32 v0, v3, v192
	v_fmac_f32_e32 v123, v1, v48
	v_fmac_f32_e32 v99, v3, v191
	s_delay_alu instid0(VALU_DEP_3)
	v_fma_f32 v100, v2, v191, -v0
	ds_load_2addr_b64 v[0:3], v180 offset0:8 offset1:204
	s_wait_dscnt 0x0
	v_mul_f32_e32 v8, v1, v51
	v_mul_f32_e32 v129, v0, v51
	;; [unrolled: 1-line block ×3, first 2 shown]
	s_delay_alu instid0(VALU_DEP_3) | instskip(SKIP_1) | instid1(VALU_DEP_4)
	v_fma_f32 v130, v0, v50, -v8
	v_mul_f32_e32 v0, v3, v194
	v_fmac_f32_e32 v129, v1, v50
	s_delay_alu instid0(VALU_DEP_4) | instskip(NEXT) | instid1(VALU_DEP_4)
	v_fmac_f32_e32 v101, v3, v193
	v_add_f32_e32 v149, v125, v130
	s_delay_alu instid0(VALU_DEP_4)
	v_fma_f32 v102, v2, v193, -v0
	ds_load_2addr_b64 v[0:3], v167 offset0:24 offset1:220
	v_dual_add_f32 v140, v99, v101 :: v_dual_add_f32 v139, v100, v102
	s_wait_dscnt 0x0
	v_mul_f32_e32 v4, v1, v169
	v_mul_f32_e32 v131, v0, v169
	s_wait_loadcnt 0x0
	v_mul_f32_e32 v103, v2, v53
	s_delay_alu instid0(VALU_DEP_3) | instskip(NEXT) | instid1(VALU_DEP_3)
	v_fma_f32 v132, v0, v168, -v4
	v_dual_mul_f32 v0, v3, v53 :: v_dual_fmac_f32 v131, v1, v168
	s_delay_alu instid0(VALU_DEP_3) | instskip(SKIP_1) | instid1(VALU_DEP_3)
	v_dual_fmac_f32 v103, v3, v52 :: v_dual_add_f32 v146, v12, v18
	v_sub_f32_e32 v12, v12, v18
	v_fma_f32 v104, v2, v52, -v0
	ds_load_2addr_b64 v[0:3], v162 offset0:40 offset1:236
	v_dual_add_f32 v138, v97, v103 :: v_dual_sub_f32 v19, v151, v146
	v_add_f32_e32 v16, v14, v12
	v_add_f32_e32 v136, v98, v104
	s_delay_alu instid0(VALU_DEP_2) | instskip(SKIP_4) | instid1(VALU_DEP_3)
	v_dual_add_f32 v219, v121, v132 :: v_dual_add_f32 v16, v16, v10
	s_wait_dscnt 0x0
	v_mul_f32_e32 v4, v1, v171
	v_mul_f32_e32 v133, v0, v171
	;; [unrolled: 1-line block ×3, first 2 shown]
	v_fma_f32 v134, v0, v170, -v4
	v_mul_f32_e32 v0, v3, v55
	s_delay_alu instid0(VALU_DEP_3)
	v_fmac_f32_e32 v105, v3, v54
	v_fmac_f32_e32 v133, v1, v170
	v_add_f32_e32 v1, v118, v122
	v_add_f32_e32 v147, v116, v134
	v_fma_f32 v106, v2, v54, -v0
	v_add_f32_e32 v137, v94, v105
	s_delay_alu instid0(VALU_DEP_2) | instskip(NEXT) | instid1(VALU_DEP_1)
	v_dual_add_f32 v0, v146, v145 :: v_dual_add_f32 v135, v95, v106
	v_add_f32_e32 v8, v151, v0
	s_delay_alu instid0(VALU_DEP_2) | instskip(NEXT) | instid1(VALU_DEP_1)
	v_add_f32_e32 v22, v136, v135
	v_dual_add_f32 v141, v139, v22 :: v_dual_add_f32 v22, v138, v137
	s_delay_alu instid0(VALU_DEP_1) | instskip(NEXT) | instid1(VALU_DEP_1)
	v_add_f32_e32 v142, v140, v22
	v_dual_add_f32 v77, v156, v142 :: v_dual_add_f32 v6, v11, v21
	v_sub_f32_e32 v11, v11, v21
	v_sub_f32_e32 v21, v7, v30
	s_delay_alu instid0(VALU_DEP_3) | instskip(NEXT) | instid1(VALU_DEP_1)
	v_add_f32_e32 v0, v30, v6
	v_dual_add_f32 v20, v20, v11 :: v_dual_add_f32 v9, v7, v0
	v_add_f32_e32 v0, v144, v143
	v_sub_f32_e32 v7, v6, v7
	v_sub_f32_e32 v6, v30, v6
	s_delay_alu instid0(VALU_DEP_3) | instskip(SKIP_1) | instid1(VALU_DEP_4)
	v_add_f32_e32 v220, v1, v0
	v_add_f32_e32 v0, v110, v127
	v_mul_f32_e32 v24, 0x3f4a47b2, v7
	s_delay_alu instid0(VALU_DEP_2) | instskip(NEXT) | instid1(VALU_DEP_1)
	v_add_f32_e32 v2, v148, v0
	v_add_f32_e32 v29, v150, v2
	ds_load_2addr_b64 v[2:5], v233 offset1:196
	global_wb scope:SCOPE_SE
	s_wait_dscnt 0x0
	s_barrier_signal -1
	s_barrier_wait -1
	global_inv scope:SCOPE_SE
	v_dual_add_f32 v80, v2, v8 :: v_dual_add_f32 v81, v3, v9
	v_dual_add_f32 v78, v4, v220 :: v_dual_add_f32 v79, v5, v29
	s_delay_alu instid0(VALU_DEP_2) | instskip(SKIP_3) | instid1(VALU_DEP_4)
	v_dual_add_f32 v2, v219, v147 :: v_dual_fmamk_f32 v17, v8, 0xbf955555, v80
	v_sub_f32_e32 v8, v15, v13
	v_sub_f32_e32 v15, v11, v15
	v_fmamk_f32 v9, v9, 0xbf955555, v81
	v_add_f32_e32 v152, v149, v2
	v_add_f32_e32 v2, v115, v133
	v_mul_f32_e32 v18, 0xbf08b237, v8
	v_sub_f32_e32 v8, v145, v151
	v_add_f32_e32 v3, v119, v131
	v_add_f32_e32 v4, v123, v129
	s_delay_alu instid0(VALU_DEP_4) | instskip(NEXT) | instid1(VALU_DEP_4)
	v_dual_add_f32 v82, v153, v152 :: v_dual_fmamk_f32 v27, v15, 0x3eae86e6, v18
	v_mul_f32_e32 v22, 0x3f4a47b2, v8
	v_sub_f32_e32 v8, v14, v12
	v_sub_f32_e32 v14, v10, v14
	v_add_f32_e32 v5, v3, v2
	v_fmac_f32_e32 v27, 0x3ee1c552, v20
	v_fmamk_f32 v7, v19, 0x3d64c772, v22
	v_mul_f32_e32 v23, 0xbf08b237, v8
	s_delay_alu instid0(VALU_DEP_4) | instskip(NEXT) | instid1(VALU_DEP_3)
	v_add_f32_e32 v5, v4, v5
	v_add_f32_e32 v25, v7, v17
	v_fmamk_f32 v7, v21, 0x3d64c772, v24
	s_delay_alu instid0(VALU_DEP_4) | instskip(NEXT) | instid1(VALU_DEP_4)
	v_fmamk_f32 v28, v14, 0x3eae86e6, v23
	v_add_f32_e32 v83, v154, v5
	s_delay_alu instid0(VALU_DEP_3) | instskip(NEXT) | instid1(VALU_DEP_3)
	v_add_f32_e32 v26, v7, v9
	v_dual_fmac_f32 v28, 0x3ee1c552, v16 :: v_dual_add_f32 v7, v27, v25
	s_delay_alu instid0(VALU_DEP_1)
	v_dual_fmamk_f32 v5, v5, 0xbf955555, v83 :: v_dual_sub_f32 v8, v26, v28
	ds_store_2addr_b64 v31, v[80:81], v[7:8] offset1:28
	v_sub_f32_e32 v8, v12, v10
	v_dual_sub_f32 v10, v13, v11 :: v_dual_sub_f32 v7, v146, v145
	v_dual_mul_f32 v11, 0x3d64c772, v19 :: v_dual_mul_f32 v12, 0x3d64c772, v21
	v_sub_f32_e32 v19, v150, v148
	s_delay_alu instid0(VALU_DEP_3)
	v_fma_f32 v13, 0x3f5ff5aa, v10, -v18
	v_mul_f32_e32 v10, 0xbf5ff5aa, v10
	v_mul_f32_e32 v18, 0xbf5ff5aa, v8
	v_fma_f32 v11, 0x3f3bfb3b, v7, -v11
	v_fma_f32 v7, 0xbf3bfb3b, v7, -v22
	;; [unrolled: 1-line block ×4, first 2 shown]
	v_fmac_f32_e32 v10, 0xbeae86e6, v15
	v_fma_f32 v15, 0x3f5ff5aa, v8, -v23
	v_dual_fmac_f32 v18, 0xbeae86e6, v14 :: v_dual_add_f32 v11, v11, v17
	v_add_f32_e32 v14, v7, v17
	v_add_f32_e32 v12, v12, v9
	;; [unrolled: 1-line block ×3, first 2 shown]
	v_fmac_f32_e32 v13, 0x3ee1c552, v20
	v_fmac_f32_e32 v10, 0x3ee1c552, v20
	;; [unrolled: 1-line block ×4, first 2 shown]
	v_sub_f32_e32 v20, v0, v150
	v_sub_f32_e32 v6, v11, v13
	s_delay_alu instid0(VALU_DEP_4) | instskip(NEXT) | instid1(VALU_DEP_3)
	v_dual_add_f32 v8, v10, v14 :: v_dual_add_f32 v7, v15, v12
	v_dual_sub_f32 v9, v17, v18 :: v_dual_mul_f32 v20, 0x3f4a47b2, v20
	v_sub_f32_e32 v0, v148, v0
	ds_store_2addr_b64 v31, v[8:9], v[6:7] offset0:56 offset1:84
	v_add_f32_e32 v6, v13, v11
	v_dual_sub_f32 v7, v12, v15 :: v_dual_sub_f32 v8, v14, v10
	v_add_f32_e32 v9, v18, v17
	v_sub_f32_e32 v11, v113, v124
	v_sub_f32_e32 v17, v1, v144
	v_dual_sub_f32 v1, v143, v1 :: v_dual_sub_f32 v10, v110, v127
	ds_store_2addr_b64 v31, v[6:7], v[8:9] offset0:112 offset1:140
	v_dual_sub_f32 v6, v25, v27 :: v_dual_add_f32 v7, v28, v26
	v_dual_sub_f32 v9, v114, v126 :: v_dual_sub_f32 v8, v112, v128
	v_mul_f32_e32 v1, 0x3f4a47b2, v1
	v_fmamk_f32 v14, v220, 0xbf955555, v78
	ds_store_b64 v31, v[6:7] offset:1344
	v_dual_sub_f32 v6, v122, v118 :: v_dual_sub_f32 v7, v120, v117
	v_mad_u16 v12, 0xc4, v91, v93
	v_fmamk_f32 v15, v29, 0xbf955555, v79
	s_delay_alu instid0(VALU_DEP_3) | instskip(SKIP_1) | instid1(VALU_DEP_2)
	v_dual_sub_f32 v21, v6, v9 :: v_dual_sub_f32 v16, v7, v11
	v_dual_add_f32 v13, v6, v9 :: v_dual_add_f32 v18, v7, v11
	v_dual_sub_f32 v22, v8, v6 :: v_dual_mul_f32 v21, 0xbf08b237, v21
	s_delay_alu instid0(VALU_DEP_3) | instskip(SKIP_1) | instid1(VALU_DEP_4)
	v_dual_mul_f32 v16, 0xbf08b237, v16 :: v_dual_sub_f32 v23, v10, v7
	v_fmamk_f32 v6, v17, 0x3d64c772, v1
	v_dual_add_f32 v13, v13, v8 :: v_dual_add_f32 v18, v18, v10
	s_delay_alu instid0(VALU_DEP_3) | instskip(NEXT) | instid1(VALU_DEP_3)
	v_dual_fmamk_f32 v27, v22, 0x3eae86e6, v21 :: v_dual_fmamk_f32 v26, v23, 0x3eae86e6, v16
	v_add_f32_e32 v24, v6, v14
	v_fmamk_f32 v6, v19, 0x3d64c772, v20
	v_and_b32_e32 v12, 0xffff, v12
	s_delay_alu instid0(VALU_DEP_4) | instskip(NEXT) | instid1(VALU_DEP_2)
	v_dual_fmac_f32 v27, 0x3ee1c552, v13 :: v_dual_fmac_f32 v26, 0x3ee1c552, v18
	v_dual_add_f32 v25, v6, v15 :: v_dual_lshlrev_b32 v28, 3, v12
	scratch_store_b32 off, v31, off offset:336 ; 4-byte Folded Spill
	v_dual_add_f32 v6, v26, v24 :: v_dual_sub_f32 v7, v25, v27
	ds_store_2addr_b64 v28, v[78:79], v[6:7] offset1:28
	v_dual_sub_f32 v6, v144, v143 :: v_dual_sub_f32 v7, v9, v8
	v_dual_sub_f32 v8, v11, v10 :: v_dual_mul_f32 v9, 0x3d64c772, v17
	v_sub_f32_e32 v17, v4, v3
	s_delay_alu instid0(VALU_DEP_3) | instskip(NEXT) | instid1(VALU_DEP_4)
	v_fma_f32 v1, 0xbf3bfb3b, v6, -v1
	v_mul_f32_e32 v12, 0xbf5ff5aa, v7
	s_delay_alu instid0(VALU_DEP_4)
	v_fma_f32 v10, 0x3f5ff5aa, v8, -v16
	v_fma_f32 v9, 0x3f3bfb3b, v6, -v9
	v_mul_f32_e32 v6, 0x3d64c772, v19
	v_mul_f32_e32 v8, 0xbf5ff5aa, v8
	v_fma_f32 v11, 0x3f5ff5aa, v7, -v21
	v_fmac_f32_e32 v12, 0xbeae86e6, v22
	v_add_f32_e32 v9, v9, v14
	v_fma_f32 v6, 0x3f3bfb3b, v0, -v6
	v_fma_f32 v0, 0xbf3bfb3b, v0, -v20
	v_fmac_f32_e32 v8, 0xbeae86e6, v23
	v_add_f32_e32 v14, v1, v14
	v_fmac_f32_e32 v10, 0x3ee1c552, v18
	v_add_f32_e32 v16, v6, v15
	s_delay_alu instid0(VALU_DEP_4) | instskip(SKIP_4) | instid1(VALU_DEP_4)
	v_dual_add_f32 v15, v0, v15 :: v_dual_fmac_f32 v8, 0x3ee1c552, v18
	v_fmac_f32_e32 v11, 0x3ee1c552, v13
	v_fmac_f32_e32 v12, 0x3ee1c552, v13
	v_sub_f32_e32 v0, v9, v10
	v_sub_f32_e32 v4, v2, v4
	v_dual_add_f32 v6, v8, v14 :: v_dual_add_f32 v1, v11, v16
	s_delay_alu instid0(VALU_DEP_4) | instskip(NEXT) | instid1(VALU_DEP_3)
	v_sub_f32_e32 v7, v15, v12
	v_mul_f32_e32 v4, 0x3f4a47b2, v4
	ds_store_2addr_b64 v28, v[6:7], v[0:1] offset0:56 offset1:84
	v_dual_add_f32 v0, v10, v9 :: v_dual_sub_f32 v1, v16, v11
	v_dual_sub_f32 v6, v14, v8 :: v_dual_add_f32 v7, v12, v15
	v_sub_f32_e32 v9, v119, v131
	v_sub_f32_e32 v15, v147, v149
	;; [unrolled: 1-line block ×4, first 2 shown]
	ds_store_2addr_b64 v28, v[0:1], v[6:7] offset0:112 offset1:140
	v_dual_sub_f32 v0, v24, v26 :: v_dual_add_f32 v1, v27, v25
	v_dual_sub_f32 v7, v121, v132 :: v_dual_sub_f32 v6, v116, v134
	v_mul_f32_e32 v15, 0x3f4a47b2, v15
	v_fmamk_f32 v12, v152, 0xbf955555, v82
	ds_store_b64 v28, v[0:1] offset:1344
	v_dual_sub_f32 v0, v130, v125 :: v_dual_sub_f32 v1, v129, v123
	v_mad_u16 v10, 0xc4, v109, v111
	s_delay_alu instid0(VALU_DEP_2) | instskip(SKIP_1) | instid1(VALU_DEP_2)
	v_dual_sub_f32 v18, v0, v7 :: v_dual_sub_f32 v13, v1, v9
	v_dual_add_f32 v11, v0, v7 :: v_dual_add_f32 v16, v1, v9
	v_dual_sub_f32 v19, v6, v0 :: v_dual_mul_f32 v18, 0xbf08b237, v18
	s_delay_alu instid0(VALU_DEP_3) | instskip(SKIP_1) | instid1(VALU_DEP_4)
	v_mul_f32_e32 v13, 0xbf08b237, v13
	v_sub_f32_e32 v20, v8, v1
	v_dual_fmamk_f32 v0, v14, 0x3d64c772, v15 :: v_dual_add_f32 v11, v11, v6
	v_add_f32_e32 v16, v16, v8
	s_delay_alu instid0(VALU_DEP_3) | instskip(NEXT) | instid1(VALU_DEP_3)
	v_dual_fmamk_f32 v24, v19, 0x3eae86e6, v18 :: v_dual_fmamk_f32 v23, v20, 0x3eae86e6, v13
	v_dual_add_f32 v21, v0, v12 :: v_dual_fmamk_f32 v0, v17, 0x3d64c772, v4
	v_and_b32_e32 v10, 0xffff, v10
	s_delay_alu instid0(VALU_DEP_3) | instskip(NEXT) | instid1(VALU_DEP_3)
	v_dual_fmac_f32 v24, 0x3ee1c552, v11 :: v_dual_fmac_f32 v23, 0x3ee1c552, v16
	v_add_f32_e32 v22, v0, v5
	s_delay_alu instid0(VALU_DEP_3) | instskip(NEXT) | instid1(VALU_DEP_2)
	v_lshlrev_b32_e32 v10, 3, v10
	v_dual_add_f32 v0, v23, v21 :: v_dual_sub_f32 v1, v22, v24
	s_delay_alu instid0(VALU_DEP_2)
	v_mov_b32_e32 v25, v10
	scratch_store_b32 off, v28, off offset:340 ; 4-byte Folded Spill
	ds_store_2addr_b64 v10, v[82:83], v[0:1] offset1:28
	scratch_store_b32 off, v25, off offset:360 ; 4-byte Folded Spill
	v_sub_f32_e32 v1, v3, v2
	v_dual_sub_f32 v2, v7, v6 :: v_dual_sub_f32 v3, v9, v8
	v_sub_f32_e32 v0, v219, v147
	v_dual_mul_f32 v6, 0x3d64c772, v14 :: v_dual_mul_f32 v7, 0x3d64c772, v17
	s_delay_alu instid0(VALU_DEP_3) | instskip(NEXT) | instid1(VALU_DEP_4)
	v_mul_f32_e32 v10, 0xbf5ff5aa, v2
	v_mul_f32_e32 v8, 0xbf5ff5aa, v3
	v_fma_f32 v9, 0x3f5ff5aa, v2, -v18
	s_delay_alu instid0(VALU_DEP_4)
	v_fma_f32 v6, 0x3f3bfb3b, v0, -v6
	v_fma_f32 v0, 0xbf3bfb3b, v0, -v15
	;; [unrolled: 1-line block ×5, first 2 shown]
	v_fmac_f32_e32 v8, 0xbeae86e6, v20
	v_fmac_f32_e32 v10, 0xbeae86e6, v19
	v_add_f32_e32 v6, v6, v12
	v_dual_add_f32 v12, v0, v12 :: v_dual_add_f32 v7, v7, v5
	v_dual_add_f32 v5, v1, v5 :: v_dual_fmac_f32 v4, 0x3ee1c552, v16
	v_dual_fmac_f32 v8, 0x3ee1c552, v16 :: v_dual_fmac_f32 v9, 0x3ee1c552, v11
	v_dual_fmac_f32 v10, 0x3ee1c552, v11 :: v_dual_sub_f32 v11, v139, v136
	s_delay_alu instid0(VALU_DEP_3) | instskip(NEXT) | instid1(VALU_DEP_3)
	v_sub_f32_e32 v0, v6, v4
	v_dual_add_f32 v2, v8, v12 :: v_dual_add_f32 v1, v9, v7
	s_delay_alu instid0(VALU_DEP_3)
	v_sub_f32_e32 v3, v5, v10
	ds_store_2addr_b64 v25, v[2:3], v[0:1] offset0:56 offset1:84
	v_dual_add_f32 v0, v4, v6 :: v_dual_sub_f32 v1, v7, v9
	v_dual_sub_f32 v2, v12, v8 :: v_dual_add_f32 v3, v10, v5
	v_sub_f32_e32 v5, v97, v103
	v_sub_f32_e32 v12, v135, v139
	;; [unrolled: 1-line block ×3, first 2 shown]
	v_mad_u16 v6, 0xc4, v89, v90
	ds_store_2addr_b64 v25, v[0:1], v[2:3] offset0:112 offset1:140
	v_dual_sub_f32 v0, v21, v23 :: v_dual_add_f32 v1, v24, v22
	v_dual_sub_f32 v3, v98, v104 :: v_dual_sub_f32 v2, v95, v106
	v_mul_f32_e32 v12, 0x3f4a47b2, v12
	v_fmamk_f32 v9, v142, 0xbf955555, v77
	ds_store_b64 v25, v[0:1] offset:1344
	v_dual_sub_f32 v0, v102, v100 :: v_dual_sub_f32 v1, v101, v99
	s_delay_alu instid0(VALU_DEP_1) | instskip(NEXT) | instid1(VALU_DEP_2)
	v_dual_add_f32 v7, v0, v3 :: v_dual_and_b32 v6, 0xffff, v6
	v_dual_sub_f32 v16, v0, v3 :: v_dual_add_f32 v13, v1, v5
	v_dual_sub_f32 v17, v2, v0 :: v_dual_sub_f32 v18, v4, v1
	s_delay_alu instid0(VALU_DEP_2) | instskip(NEXT) | instid1(VALU_DEP_3)
	v_dual_add_f32 v7, v7, v2 :: v_dual_mul_f32 v16, 0xbf08b237, v16
	v_dual_sub_f32 v2, v3, v2 :: v_dual_add_f32 v13, v13, v4
	v_dual_fmamk_f32 v0, v11, 0x3d64c772, v12 :: v_dual_sub_f32 v3, v5, v4
	s_delay_alu instid0(VALU_DEP_3) | instskip(SKIP_1) | instid1(VALU_DEP_4)
	v_fmamk_f32 v22, v17, 0x3eae86e6, v16
	v_mul_f32_e32 v4, 0x3d64c772, v11
	v_fma_f32 v11, 0x3f5ff5aa, v2, -v16
	v_dual_sub_f32 v10, v1, v5 :: v_dual_lshlrev_b32 v255, 3, v6
	s_delay_alu instid0(VALU_DEP_4) | instskip(NEXT) | instid1(VALU_DEP_3)
	v_fmac_f32_e32 v22, 0x3ee1c552, v7
	v_dual_add_f32 v76, v155, v141 :: v_dual_fmac_f32 v11, 0x3ee1c552, v7
	s_delay_alu instid0(VALU_DEP_3) | instskip(SKIP_1) | instid1(VALU_DEP_3)
	v_dual_sub_f32 v15, v137, v140 :: v_dual_mul_f32 v10, 0xbf08b237, v10
	v_sub_f32_e32 v14, v140, v138
	v_fmamk_f32 v8, v141, 0xbf955555, v76
	s_delay_alu instid0(VALU_DEP_3) | instskip(NEXT) | instid1(VALU_DEP_4)
	v_mul_f32_e32 v15, 0x3f4a47b2, v15
	v_fmamk_f32 v21, v18, 0x3eae86e6, v10
	s_delay_alu instid0(VALU_DEP_4) | instskip(NEXT) | instid1(VALU_DEP_4)
	v_mul_f32_e32 v5, 0x3d64c772, v14
	v_add_f32_e32 v19, v0, v8
	v_fma_f32 v6, 0x3f5ff5aa, v3, -v10
	v_fmamk_f32 v0, v14, 0x3d64c772, v15
	v_fmac_f32_e32 v21, 0x3ee1c552, v13
	v_mul_f32_e32 v10, 0xbf5ff5aa, v3
	s_delay_alu instid0(VALU_DEP_4) | instskip(NEXT) | instid1(VALU_DEP_4)
	v_fmac_f32_e32 v6, 0x3ee1c552, v13
	v_add_f32_e32 v20, v0, v9
	s_delay_alu instid0(VALU_DEP_4) | instskip(NEXT) | instid1(VALU_DEP_4)
	v_add_f32_e32 v0, v21, v19
	v_fmac_f32_e32 v10, 0xbeae86e6, v18
	s_delay_alu instid0(VALU_DEP_1) | instskip(SKIP_2) | instid1(VALU_DEP_1)
	v_dual_sub_f32 v1, v20, v22 :: v_dual_fmac_f32 v10, 0x3ee1c552, v13
	ds_store_2addr_b64 v255, v[76:77], v[0:1] offset1:28
	v_sub_f32_e32 v1, v138, v137
	v_fma_f32 v5, 0x3f3bfb3b, v1, -v5
	v_fma_f32 v1, 0xbf3bfb3b, v1, -v15
	s_delay_alu instid0(VALU_DEP_2) | instskip(NEXT) | instid1(VALU_DEP_2)
	v_dual_add_f32 v5, v5, v9 :: v_dual_sub_f32 v0, v136, v135
	v_add_f32_e32 v9, v1, v9
	s_delay_alu instid0(VALU_DEP_2) | instskip(NEXT) | instid1(VALU_DEP_3)
	v_add_f32_e32 v1, v11, v5
	v_fma_f32 v4, 0x3f3bfb3b, v0, -v4
	v_fma_f32 v0, 0xbf3bfb3b, v0, -v12
	v_mul_f32_e32 v12, 0xbf5ff5aa, v2
	s_delay_alu instid0(VALU_DEP_3) | instskip(NEXT) | instid1(VALU_DEP_3)
	v_add_f32_e32 v4, v4, v8
	v_add_f32_e32 v8, v0, v8
	s_delay_alu instid0(VALU_DEP_3) | instskip(NEXT) | instid1(VALU_DEP_3)
	v_fmac_f32_e32 v12, 0xbeae86e6, v17
	v_sub_f32_e32 v0, v4, v6
	s_delay_alu instid0(VALU_DEP_3) | instskip(NEXT) | instid1(VALU_DEP_3)
	v_add_f32_e32 v2, v10, v8
	v_fmac_f32_e32 v12, 0x3ee1c552, v7
	s_delay_alu instid0(VALU_DEP_1)
	v_sub_f32_e32 v3, v9, v12
	ds_store_2addr_b64 v255, v[2:3], v[0:1] offset0:56 offset1:84
	v_dual_add_f32 v0, v6, v4 :: v_dual_sub_f32 v1, v5, v11
	v_sub_f32_e32 v2, v8, v10
	v_add_f32_e32 v3, v12, v9
	v_mad_co_u64_u32 v[4:5], null, v160, 24, s[10:11]
	ds_store_2addr_b64 v255, v[0:1], v[2:3] offset0:112 offset1:140
	v_dual_sub_f32 v0, v19, v21 :: v_dual_add_f32 v1, v22, v20
	ds_store_b64 v255, v[0:1] offset:1344
	global_wb scope:SCOPE_SE
	s_wait_storecnt_dscnt 0x0
	s_barrier_signal -1
	s_barrier_wait -1
	global_inv scope:SCOPE_SE
	global_load_b128 v[76:79], v[4:5], off offset:1512
	ds_load_2addr_b64 v[0:3], v182 offset0:56 offset1:252
	scratch_store_b32 off, v160, off offset:232 ; 4-byte Folded Spill
	s_wait_loadcnt_dscnt 0x0
	v_mul_f32_e32 v6, v1, v79
	v_mul_f32_e32 v9, v0, v79
	;; [unrolled: 1-line block ×3, first 2 shown]
	s_delay_alu instid0(VALU_DEP_3) | instskip(NEXT) | instid1(VALU_DEP_3)
	v_fma_f32 v8, v0, v78, -v6
	v_dual_mul_f32 v0, v3, v79 :: v_dual_fmac_f32 v9, v1, v78
	s_delay_alu instid0(VALU_DEP_3) | instskip(NEXT) | instid1(VALU_DEP_2)
	v_fmac_f32_e32 v17, v3, v78
	v_fma_f32 v16, v2, v78, -v0
	v_mul_u32_u24_e32 v0, 0xa73, v87
	s_delay_alu instid0(VALU_DEP_1) | instskip(NEXT) | instid1(VALU_DEP_1)
	v_lshrrev_b32_e32 v0, 17, v0
	v_mul_lo_u16 v0, 0xc4, v0
	s_delay_alu instid0(VALU_DEP_1) | instskip(NEXT) | instid1(VALU_DEP_1)
	v_sub_nc_u16 v18, v84, v0
	v_mul_lo_u16 v0, v18, 24
	s_delay_alu instid0(VALU_DEP_1) | instskip(NEXT) | instid1(VALU_DEP_1)
	v_and_b32_e32 v0, 0xffff, v0
	v_add_co_u32 v6, s12, s10, v0
	s_wait_alu 0xf1ff
	v_add_co_ci_u32_e64 v7, null, s11, 0, s12
	ds_load_2addr_b64 v[0:3], v166 offset0:32 offset1:228
	s_clause 0x2
	global_load_b128 v[80:83], v[6:7], off offset:1512
	global_load_b64 v[219:220], v[4:5], off offset:1528
	global_load_b64 v[249:250], v[6:7], off offset:1528
	s_wait_dscnt 0x0
	v_mul_f32_e32 v10, v1, v77
	v_mul_f32_e32 v20, v0, v77
	s_delay_alu instid0(VALU_DEP_2) | instskip(NEXT) | instid1(VALU_DEP_2)
	v_fma_f32 v19, v0, v76, -v10
	v_fmac_f32_e32 v20, v1, v76
	s_wait_loadcnt 0x2
	v_mul_f32_e32 v0, v3, v81
	v_mul_f32_e32 v22, v2, v81
	s_delay_alu instid0(VALU_DEP_2) | instskip(NEXT) | instid1(VALU_DEP_2)
	v_fma_f32 v21, v2, v80, -v0
	v_fmac_f32_e32 v22, v3, v80
	ds_load_2addr_b64 v[0:3], v167 offset0:24 offset1:220
	s_wait_loadcnt_dscnt 0x100
	v_mul_f32_e32 v4, v1, v220
	v_mul_f32_e32 v24, v0, v220
	s_wait_loadcnt 0x0
	v_mul_f32_e32 v26, v2, v250
	s_delay_alu instid0(VALU_DEP_3) | instskip(SKIP_2) | instid1(VALU_DEP_4)
	v_fma_f32 v23, v0, v219, -v4
	v_mul_f32_e32 v0, v3, v250
	v_fmac_f32_e32 v24, v1, v219
	v_fmac_f32_e32 v26, v3, v249
	s_delay_alu instid0(VALU_DEP_3) | instskip(SKIP_1) | instid1(VALU_DEP_1)
	v_fma_f32 v25, v2, v249, -v0
	v_mul_u32_u24_e32 v0, 0xa73, v86
	v_lshrrev_b32_e32 v0, 17, v0
	s_delay_alu instid0(VALU_DEP_1) | instskip(NEXT) | instid1(VALU_DEP_1)
	v_mul_lo_u16 v0, 0xc4, v0
	v_sub_nc_u16 v27, v85, v0
	s_delay_alu instid0(VALU_DEP_1) | instskip(NEXT) | instid1(VALU_DEP_1)
	v_mul_lo_u16 v0, v27, 24
	v_and_b32_e32 v0, 0xffff, v0
	s_delay_alu instid0(VALU_DEP_1)
	v_add_co_u32 v4, s12, s10, v0
	s_wait_alu 0xf1ff
	v_add_co_ci_u32_e64 v5, null, s11, 0, s12
	ds_load_2addr_b64 v[0:3], v164 offset1:196
	global_load_b128 v[84:87], v[4:5], off offset:1512
	s_wait_dscnt 0x0
	v_mul_f32_e32 v6, v1, v83
	v_mul_f32_e32 v29, v0, v83
	s_delay_alu instid0(VALU_DEP_2) | instskip(SKIP_1) | instid1(VALU_DEP_2)
	v_fma_f32 v28, v0, v82, -v6
	s_wait_loadcnt 0x0
	v_dual_fmac_f32 v29, v1, v82 :: v_dual_mul_f32 v0, v3, v87
	v_mul_f32_e32 v31, v2, v87
	s_delay_alu instid0(VALU_DEP_2) | instskip(SKIP_1) | instid1(VALU_DEP_1)
	v_fma_f32 v30, v2, v86, -v0
	v_lshrrev_b16 v0, 2, v88
	v_dual_fmac_f32 v31, v3, v86 :: v_dual_and_b32 v0, 0xffff, v0
	s_delay_alu instid0(VALU_DEP_1) | instskip(NEXT) | instid1(VALU_DEP_1)
	v_mul_u32_u24_e32 v0, 0xa73, v0
	v_lshrrev_b32_e32 v0, 17, v0
	s_delay_alu instid0(VALU_DEP_1) | instskip(NEXT) | instid1(VALU_DEP_1)
	v_mul_lo_u16 v0, 0xc4, v0
	v_sub_nc_u16 v100, v88, v0
	s_delay_alu instid0(VALU_DEP_1) | instskip(NEXT) | instid1(VALU_DEP_1)
	v_mul_lo_u16 v0, v100, 24
	v_and_b32_e32 v0, 0xffff, v0
	s_delay_alu instid0(VALU_DEP_1)
	v_add_co_u32 v6, s12, s10, v0
	s_wait_alu 0xf1ff
	v_add_co_ci_u32_e64 v7, null, s11, 0, s12
	ds_load_2addr_b64 v[0:3], v181 offset0:40 offset1:236
	s_clause 0x2
	global_load_b128 v[88:91], v[6:7], off offset:1512
	global_load_b64 v[238:239], v[4:5], off offset:1528
	global_load_b64 v[5:6], v[6:7], off offset:1528
	s_wait_dscnt 0x0
	v_mul_f32_e32 v10, v1, v85
	v_mul_f32_e32 v102, v0, v85
	s_delay_alu instid0(VALU_DEP_2) | instskip(NEXT) | instid1(VALU_DEP_2)
	v_fma_f32 v101, v0, v84, -v10
	v_fmac_f32_e32 v102, v1, v84
	s_wait_loadcnt 0x2
	v_mul_f32_e32 v0, v3, v89
	v_mul_f32_e32 v104, v2, v89
	s_wait_loadcnt 0x0
	scratch_store_b64 off, v[5:6], off offset:376 ; 8-byte Folded Spill
	v_fma_f32 v103, v2, v88, -v0
	v_fmac_f32_e32 v104, v3, v88
	ds_load_2addr_b64 v[0:3], v161 offset0:32 offset1:228
	s_wait_dscnt 0x0
	v_mul_f32_e32 v4, v1, v239
	v_mul_f32_e32 v106, v0, v239
	;; [unrolled: 1-line block ×3, first 2 shown]
	s_delay_alu instid0(VALU_DEP_3) | instskip(SKIP_1) | instid1(VALU_DEP_3)
	v_fma_f32 v105, v0, v238, -v4
	v_mul_f32_e32 v0, v3, v6
	v_fmac_f32_e32 v108, v3, v5
	v_fmac_f32_e32 v106, v1, v238
	s_delay_alu instid0(VALU_DEP_3) | instskip(SKIP_1) | instid1(VALU_DEP_1)
	v_fma_f32 v107, v2, v5, -v0
	v_lshrrev_b16 v0, 2, v92
	v_and_b32_e32 v0, 0xffff, v0
	s_delay_alu instid0(VALU_DEP_1) | instskip(NEXT) | instid1(VALU_DEP_1)
	v_mul_u32_u24_e32 v0, 0xa73, v0
	v_lshrrev_b32_e32 v0, 17, v0
	s_delay_alu instid0(VALU_DEP_1) | instskip(NEXT) | instid1(VALU_DEP_1)
	v_mul_lo_u16 v0, 0xc4, v0
	v_sub_nc_u16 v109, v92, v0
	s_delay_alu instid0(VALU_DEP_1) | instskip(NEXT) | instid1(VALU_DEP_1)
	v_mul_lo_u16 v0, v109, 24
	v_and_b32_e32 v0, 0xffff, v0
	s_delay_alu instid0(VALU_DEP_1)
	v_add_co_u32 v4, s12, s10, v0
	s_wait_alu 0xf1ff
	v_add_co_ci_u32_e64 v5, null, s11, 0, s12
	ds_load_2addr_b64 v[0:3], v180 offset0:8 offset1:204
	global_load_b128 v[92:95], v[4:5], off offset:1512
	s_wait_dscnt 0x0
	v_mul_f32_e32 v6, v1, v91
	v_mul_f32_e32 v111, v0, v91
	s_delay_alu instid0(VALU_DEP_2) | instskip(SKIP_1) | instid1(VALU_DEP_2)
	v_fma_f32 v110, v0, v90, -v6
	s_wait_loadcnt 0x0
	v_dual_fmac_f32 v111, v1, v90 :: v_dual_mul_f32 v0, v3, v95
	v_mul_f32_e32 v113, v2, v95
	s_delay_alu instid0(VALU_DEP_2) | instskip(SKIP_1) | instid1(VALU_DEP_1)
	v_fma_f32 v112, v2, v94, -v0
	v_lshrrev_b16 v0, 2, v96
	v_dual_fmac_f32 v113, v3, v94 :: v_dual_and_b32 v0, 0xffff, v0
	s_delay_alu instid0(VALU_DEP_1) | instskip(NEXT) | instid1(VALU_DEP_1)
	v_mul_u32_u24_e32 v0, 0xa73, v0
	v_lshrrev_b32_e32 v0, 17, v0
	s_delay_alu instid0(VALU_DEP_1) | instskip(NEXT) | instid1(VALU_DEP_1)
	v_mul_lo_u16 v0, 0xc4, v0
	v_sub_nc_u16 v114, v96, v0
	s_delay_alu instid0(VALU_DEP_1) | instskip(NEXT) | instid1(VALU_DEP_1)
	v_mul_lo_u16 v0, v114, 24
	v_and_b32_e32 v6, 0xffff, v0
	ds_load_2addr_b64 v[0:3], v165 offset0:48 offset1:244
	v_add_co_u32 v6, s12, s10, v6
	s_wait_dscnt 0x0
	v_mul_f32_e32 v7, v1, v93
	v_mul_f32_e32 v116, v0, v93
	s_delay_alu instid0(VALU_DEP_2) | instskip(SKIP_2) | instid1(VALU_DEP_3)
	v_fma_f32 v115, v0, v92, -v7
	s_wait_alu 0xf1ff
	v_add_co_ci_u32_e64 v7, null, s11, 0, s12
	v_fmac_f32_e32 v116, v1, v92
	global_load_b128 v[140:143], v[6:7], off offset:1512
	s_wait_loadcnt 0x0
	v_mul_f32_e32 v0, v3, v141
	v_mul_f32_e32 v118, v2, v141
	s_delay_alu instid0(VALU_DEP_2) | instskip(NEXT) | instid1(VALU_DEP_2)
	v_fma_f32 v117, v2, v140, -v0
	v_fmac_f32_e32 v118, v3, v140
	ds_load_2addr_b64 v[0:3], v163 offset0:16 offset1:212
	s_clause 0x1
	global_load_b64 v[229:230], v[4:5], off offset:1528
	global_load_b64 v[247:248], v[6:7], off offset:1528
	s_wait_dscnt 0x0
	v_mul_f32_e32 v10, v3, v220
	v_dual_mul_f32 v11, v2, v220 :: v_dual_mul_f32 v120, v0, v143
	s_delay_alu instid0(VALU_DEP_2) | instskip(SKIP_1) | instid1(VALU_DEP_3)
	v_fma_f32 v10, v2, v219, -v10
	v_mul_f32_e32 v2, v1, v143
	v_dual_fmac_f32 v11, v3, v219 :: v_dual_fmac_f32 v120, v1, v142
	s_delay_alu instid0(VALU_DEP_2)
	v_fma_f32 v119, v0, v142, -v2
	ds_load_2addr_b64 v[0:3], v162 offset0:40 offset1:236
	s_wait_loadcnt_dscnt 0x100
	v_mul_f32_e32 v4, v1, v230
	v_mul_f32_e32 v122, v0, v230
	s_wait_loadcnt 0x0
	v_mul_f32_e32 v124, v2, v248
	s_delay_alu instid0(VALU_DEP_3) | instskip(SKIP_2) | instid1(VALU_DEP_4)
	v_fma_f32 v121, v0, v229, -v4
	v_mul_f32_e32 v0, v3, v248
	v_fmac_f32_e32 v122, v1, v229
	v_fmac_f32_e32 v124, v3, v247
	s_delay_alu instid0(VALU_DEP_3) | instskip(SKIP_4) | instid1(VALU_DEP_2)
	v_fma_f32 v123, v2, v247, -v0
	ds_load_2addr_b64 v[0:3], v158 offset0:24 offset1:220
	s_wait_dscnt 0x0
	v_mul_f32_e32 v4, v3, v77
	v_mul_f32_e32 v7, v2, v77
	v_fma_f32 v6, v2, v76, -v4
	s_delay_alu instid0(VALU_DEP_2) | instskip(SKIP_3) | instid1(VALU_DEP_2)
	v_fmac_f32_e32 v7, v3, v76
	ds_load_2addr_b64 v[2:5], v233 offset1:196
	v_sub_f32_e32 v12, v6, v10
	v_sub_f32_e32 v10, v7, v11
	v_fma_f32 v6, v6, 2.0, -v12
	s_delay_alu instid0(VALU_DEP_2) | instskip(SKIP_2) | instid1(VALU_DEP_1)
	v_fma_f32 v7, v7, 2.0, -v10
	s_wait_dscnt 0x0
	v_dual_sub_f32 v8, v2, v8 :: v_dual_sub_f32 v9, v3, v9
	v_fma_f32 v13, v2, 2.0, -v8
	s_delay_alu instid0(VALU_DEP_2) | instskip(SKIP_1) | instid1(VALU_DEP_2)
	v_fma_f32 v14, v3, 2.0, -v9
	v_dual_sub_f32 v10, v8, v10 :: v_dual_add_f32 v11, v9, v12
	v_dual_sub_f32 v2, v13, v6 :: v_dual_sub_f32 v3, v14, v7
	s_delay_alu instid0(VALU_DEP_2) | instskip(NEXT) | instid1(VALU_DEP_2)
	v_fma_f32 v15, v9, 2.0, -v11
	v_fma_f32 v12, v13, 2.0, -v2
	s_delay_alu instid0(VALU_DEP_3)
	v_fma_f32 v13, v14, 2.0, -v3
	v_fma_f32 v14, v8, 2.0, -v10
	ds_load_2addr_b64 v[6:9], v243 offset0:8 offset1:204
	ds_load_2addr_b64 v[96:99], v231 offset0:16 offset1:212
	global_wb scope:SCOPE_SE
	s_wait_storecnt_dscnt 0x0
	s_barrier_signal -1
	s_barrier_wait -1
	global_inv scope:SCOPE_SE
	ds_store_2addr_b64 v233, v[12:13], v[14:15] offset1:196
	ds_store_2addr_b64 v243, v[2:3], v[10:11] offset0:8 offset1:204
	v_dual_sub_f32 v12, v4, v16 :: v_dual_sub_f32 v13, v5, v17
	v_mov_b32_e32 v15, v158
	s_delay_alu instid0(VALU_DEP_2) | instskip(NEXT) | instid1(VALU_DEP_3)
	v_fma_f32 v10, v4, 2.0, -v12
	v_fma_f32 v11, v5, 2.0, -v13
	v_dual_sub_f32 v5, v19, v23 :: v_dual_sub_f32 v4, v20, v24
	s_delay_alu instid0(VALU_DEP_1) | instskip(NEXT) | instid1(VALU_DEP_2)
	v_fma_f32 v2, v19, 2.0, -v5
	v_fma_f32 v3, v20, 2.0, -v4
	v_dual_sub_f32 v4, v12, v4 :: v_dual_add_f32 v5, v13, v5
	s_delay_alu instid0(VALU_DEP_2) | instskip(NEXT) | instid1(VALU_DEP_2)
	v_dual_sub_f32 v2, v10, v2 :: v_dual_sub_f32 v3, v11, v3
	v_fma_f32 v12, v12, 2.0, -v4
	s_delay_alu instid0(VALU_DEP_3) | instskip(NEXT) | instid1(VALU_DEP_3)
	v_fma_f32 v13, v13, 2.0, -v5
	v_fma_f32 v10, v10, 2.0, -v2
	s_delay_alu instid0(VALU_DEP_4)
	v_fma_f32 v11, v11, 2.0, -v3
	ds_store_2addr_b64 v231, v[10:11], v[12:13] offset0:16 offset1:212
	ds_store_2addr_b64 v158, v[2:3], v[4:5] offset0:24 offset1:220
	v_dual_sub_f32 v5, v21, v25 :: v_dual_sub_f32 v4, v22, v26
	v_dual_sub_f32 v10, v6, v28 :: v_dual_sub_f32 v11, v7, v29
	v_and_b32_e32 v12, 0xffff, v18
	s_delay_alu instid0(VALU_DEP_3) | instskip(NEXT) | instid1(VALU_DEP_4)
	v_fma_f32 v2, v21, 2.0, -v5
	v_fma_f32 v3, v22, 2.0, -v4
	s_delay_alu instid0(VALU_DEP_4) | instskip(SKIP_3) | instid1(VALU_DEP_3)
	v_fma_f32 v6, v6, 2.0, -v10
	v_fma_f32 v7, v7, 2.0, -v11
	v_dual_sub_f32 v4, v10, v4 :: v_dual_add_f32 v5, v11, v5
	v_lshlrev_b32_e32 v12, 3, v12
	v_dual_sub_f32 v2, v6, v2 :: v_dual_sub_f32 v3, v7, v3
	s_delay_alu instid0(VALU_DEP_3) | instskip(NEXT) | instid1(VALU_DEP_4)
	v_fma_f32 v10, v10, 2.0, -v4
	v_fma_f32 v11, v11, 2.0, -v5
	s_delay_alu instid0(VALU_DEP_4) | instskip(NEXT) | instid1(VALU_DEP_4)
	v_add_nc_u32_e32 v13, 0x3000, v12
	v_fma_f32 v6, v6, 2.0, -v2
	v_fma_f32 v7, v7, 2.0, -v3
	ds_store_2addr_b64 v13, v[6:7], v[10:11] offset0:32 offset1:228
	v_add_nc_u32_e32 v6, 0x3c00, v12
	v_dual_sub_f32 v10, v8, v30 :: v_dual_sub_f32 v11, v9, v31
	scratch_store_b32 off, v13, off offset:344 ; 4-byte Folded Spill
	v_mad_co_u64_u32 v[13:14], null, v160, 48, s[10:11]
	scratch_store_b32 off, v6, off offset:348 ; 4-byte Folded Spill
	ds_store_2addr_b64 v6, v[2:3], v[4:5] offset0:40 offset1:236
	v_dual_sub_f32 v4, v102, v106 :: v_dual_sub_f32 v5, v101, v105
	v_fma_f32 v6, v8, 2.0, -v10
	v_fma_f32 v7, v9, 2.0, -v11
	s_delay_alu instid0(VALU_DEP_3) | instskip(SKIP_3) | instid1(VALU_DEP_4)
	v_fma_f32 v3, v102, 2.0, -v4
	v_sub_f32_e32 v4, v10, v4
	v_fma_f32 v2, v101, 2.0, -v5
	v_add_f32_e32 v5, v11, v5
	v_sub_f32_e32 v3, v7, v3
	s_delay_alu instid0(VALU_DEP_4) | instskip(SKIP_4) | instid1(VALU_DEP_4)
	v_fma_f32 v8, v10, 2.0, -v4
	v_and_b32_e32 v10, 0xffff, v27
	v_sub_f32_e32 v2, v6, v2
	v_fma_f32 v9, v11, 2.0, -v5
	v_fma_f32 v7, v7, 2.0, -v3
	v_lshlrev_b32_e32 v10, 3, v10
	s_delay_alu instid0(VALU_DEP_4) | instskip(NEXT) | instid1(VALU_DEP_2)
	v_fma_f32 v6, v6, 2.0, -v2
	v_add_nc_u32_e32 v11, 0x4800, v10
	ds_store_2addr_b64 v11, v[6:7], v[8:9] offset0:48 offset1:244
	v_add_nc_u32_e32 v6, 0x5400, v10
	v_and_b32_e32 v10, 0xffff, v100
	v_dual_sub_f32 v8, v96, v110 :: v_dual_sub_f32 v9, v97, v111
	scratch_store_b32 off, v11, off offset:352 ; 4-byte Folded Spill
	ds_store_2addr_b64 v6, v[2:3], v[4:5] offset0:56 offset1:252
	v_dual_sub_f32 v5, v103, v107 :: v_dual_sub_f32 v4, v104, v108
	v_lshlrev_b32_e32 v10, 3, v10
	v_fma_f32 v7, v97, 2.0, -v9
	s_delay_alu instid0(VALU_DEP_3) | instskip(NEXT) | instid1(VALU_DEP_4)
	v_fma_f32 v2, v103, 2.0, -v5
	v_fma_f32 v3, v104, 2.0, -v4
	s_delay_alu instid0(VALU_DEP_4) | instskip(SKIP_3) | instid1(VALU_DEP_2)
	v_add_nc_u32_e32 v11, 0x6200, v10
	scratch_store_b32 off, v6, off offset:356 ; 4-byte Folded Spill
	v_fma_f32 v6, v96, 2.0, -v8
	v_dual_sub_f32 v4, v8, v4 :: v_dual_sub_f32 v3, v7, v3
	v_dual_add_f32 v5, v9, v5 :: v_dual_sub_f32 v2, v6, v2
	s_delay_alu instid0(VALU_DEP_2) | instskip(NEXT) | instid1(VALU_DEP_3)
	v_fma_f32 v8, v8, 2.0, -v4
	v_fma_f32 v7, v7, 2.0, -v3
	s_delay_alu instid0(VALU_DEP_3) | instskip(NEXT) | instid1(VALU_DEP_4)
	v_fma_f32 v9, v9, 2.0, -v5
	v_fma_f32 v6, v6, 2.0, -v2
	ds_store_2addr_b64 v11, v[6:7], v[8:9] offset1:196
	v_add_nc_u32_e32 v6, 0x6e00, v10
	v_dual_sub_f32 v8, v98, v112 :: v_dual_sub_f32 v9, v99, v113
	scratch_store_b32 off, v11, off offset:364 ; 4-byte Folded Spill
	v_and_b32_e32 v10, 0xffff, v109
	ds_store_2addr_b64 v6, v[2:3], v[4:5] offset0:8 offset1:204
	v_dual_sub_f32 v5, v115, v121 :: v_dual_sub_f32 v4, v116, v122
	scratch_store_b32 off, v6, off offset:372 ; 4-byte Folded Spill
	v_fma_f32 v6, v98, 2.0, -v8
	v_fma_f32 v7, v99, 2.0, -v9
	;; [unrolled: 1-line block ×4, first 2 shown]
	v_dual_sub_f32 v4, v8, v4 :: v_dual_add_f32 v5, v9, v5
	v_lshlrev_b32_e32 v10, 3, v10
	s_delay_alu instid0(VALU_DEP_3) | instskip(NEXT) | instid1(VALU_DEP_3)
	v_dual_sub_f32 v2, v6, v2 :: v_dual_sub_f32 v3, v7, v3
	v_fma_f32 v8, v8, 2.0, -v4
	s_delay_alu instid0(VALU_DEP_4) | instskip(NEXT) | instid1(VALU_DEP_4)
	v_fma_f32 v9, v9, 2.0, -v5
	v_add_nc_u32_e32 v11, 0x7a00, v10
	s_delay_alu instid0(VALU_DEP_4)
	v_fma_f32 v6, v6, 2.0, -v2
	v_fma_f32 v7, v7, 2.0, -v3
	ds_store_2addr_b64 v11, v[6:7], v[8:9] offset0:16 offset1:212
	v_dual_sub_f32 v7, v1, v120 :: v_dual_add_nc_u32 v6, 0x8600, v10
	v_and_b32_e32 v8, 0xffff, v114
	scratch_store_b32 off, v6, off offset:392 ; 4-byte Folded Spill
	ds_store_2addr_b64 v6, v[2:3], v[4:5] offset0:24 offset1:220
	v_sub_f32_e32 v6, v0, v119
	v_dual_sub_f32 v3, v117, v123 :: v_dual_sub_f32 v2, v118, v124
	v_fma_f32 v5, v1, 2.0, -v7
	v_lshlrev_b32_e32 v8, 3, v8
	s_delay_alu instid0(VALU_DEP_4) | instskip(NEXT) | instid1(VALU_DEP_4)
	v_fma_f32 v4, v0, 2.0, -v6
	v_fma_f32 v0, v117, 2.0, -v3
	;; [unrolled: 1-line block ×3, first 2 shown]
	v_dual_sub_f32 v2, v6, v2 :: v_dual_add_f32 v3, v7, v3
	v_add_nc_u32_e32 v9, 0x9200, v8
	s_delay_alu instid0(VALU_DEP_3) | instskip(NEXT) | instid1(VALU_DEP_3)
	v_dual_sub_f32 v0, v4, v0 :: v_dual_sub_f32 v1, v5, v1
	v_fma_f32 v6, v6, 2.0, -v2
	s_delay_alu instid0(VALU_DEP_4) | instskip(NEXT) | instid1(VALU_DEP_3)
	v_fma_f32 v7, v7, 2.0, -v3
	v_fma_f32 v4, v4, 2.0, -v0
	s_delay_alu instid0(VALU_DEP_4)
	v_fma_f32 v5, v5, 2.0, -v1
	ds_store_2addr_b64 v9, v[4:5], v[6:7] offset0:32 offset1:228
	v_add_nc_u32_e32 v4, 0x9e00, v8
	s_clause 0x2
	scratch_store_b32 off, v11, off offset:368
	scratch_store_b32 off, v9, off offset:388
	;; [unrolled: 1-line block ×3, first 2 shown]
	ds_store_2addr_b64 v4, v[0:1], v[2:3] offset0:40 offset1:236
	global_wb scope:SCOPE_SE
	s_wait_storecnt_dscnt 0x0
	s_barrier_signal -1
	s_barrier_wait -1
	global_inv scope:SCOPE_SE
	s_clause 0x9
	global_load_b128 v[120:123], v[13:14], off offset:6216
	global_load_b128 v[144:147], v[13:14], off offset:6232
	;; [unrolled: 1-line block ×10, first 2 shown]
	ds_load_2addr_b64 v[0:3], v231 offset0:16 offset1:212
	ds_load_2addr_b64 v[98:101], v182 offset0:56 offset1:252
	s_wait_loadcnt_dscnt 0x901
	v_mul_f32_e32 v4, v1, v121
	v_mul_f32_e32 v5, v0, v121
	s_wait_loadcnt 0x7
	v_mul_f32_e32 v23, v2, v133
	s_delay_alu instid0(VALU_DEP_3) | instskip(NEXT) | instid1(VALU_DEP_3)
	v_fma_f32 v158, v0, v120, -v4
	v_dual_mul_f32 v0, v3, v133 :: v_dual_fmac_f32 v5, v1, v120
	s_delay_alu instid0(VALU_DEP_3) | instskip(NEXT) | instid1(VALU_DEP_2)
	v_fmac_f32_e32 v23, v3, v132
	v_fma_f32 v187, v2, v132, -v0
	ds_load_2addr_b64 v[0:3], v166 offset0:32 offset1:228
	s_wait_dscnt 0x0
	v_mul_f32_e32 v6, v1, v123
	v_mul_f32_e32 v25, v0, v123
	;; [unrolled: 1-line block ×3, first 2 shown]
	s_delay_alu instid0(VALU_DEP_3) | instskip(SKIP_3) | instid1(VALU_DEP_2)
	v_fma_f32 v151, v0, v122, -v6
	ds_load_2addr_b64 v[6:9], v165 offset0:48 offset1:244
	v_dual_mul_f32 v0, v3, v135 :: v_dual_fmac_f32 v25, v1, v122
	v_fmac_f32_e32 v19, v3, v134
	v_fma_f32 v184, v2, v134, -v0
	s_wait_dscnt 0x0
	v_mul_f32_e32 v0, v7, v145
	v_mul_f32_e32 v27, v6, v145
	s_wait_loadcnt 0x5
	v_mul_f32_e32 v155, v8, v125
	s_delay_alu instid0(VALU_DEP_3) | instskip(NEXT) | instid1(VALU_DEP_3)
	v_fma_f32 v150, v6, v144, -v0
	v_dual_mul_f32 v0, v9, v125 :: v_dual_fmac_f32 v27, v7, v144
	s_delay_alu instid0(VALU_DEP_3) | instskip(NEXT) | instid1(VALU_DEP_2)
	v_fmac_f32_e32 v155, v9, v124
	v_fma_f32 v183, v8, v124, -v0
	ds_load_2addr_b64 v[6:9], v164 offset1:196
	s_wait_dscnt 0x0
	v_mul_f32_e32 v0, v7, v147
	v_mul_f32_e32 v29, v6, v147
	;; [unrolled: 1-line block ×3, first 2 shown]
	s_delay_alu instid0(VALU_DEP_3) | instskip(NEXT) | instid1(VALU_DEP_3)
	v_fma_f32 v149, v6, v146, -v0
	v_dual_mul_f32 v0, v9, v127 :: v_dual_fmac_f32 v29, v7, v146
	s_delay_alu instid0(VALU_DEP_3) | instskip(NEXT) | instid1(VALU_DEP_3)
	v_fmac_f32_e32 v154, v9, v126
	v_add_f32_e32 v28, v150, v149
	s_delay_alu instid0(VALU_DEP_3)
	v_fma_f32 v242, v8, v126, -v0
	ds_load_2addr_b64 v[6:9], v163 offset0:16 offset1:212
	v_add_f32_e32 v24, v27, v29
	v_add_f32_e32 v30, v155, v154
	;; [unrolled: 1-line block ×3, first 2 shown]
	s_wait_dscnt 0x0
	v_mul_f32_e32 v0, v7, v137
	v_mul_f32_e32 v31, v6, v137
	s_wait_loadcnt 0x4
	v_mul_f32_e32 v162, v8, v113
	s_delay_alu instid0(VALU_DEP_3) | instskip(NEXT) | instid1(VALU_DEP_3)
	v_fma_f32 v148, v6, v136, -v0
	v_dual_mul_f32 v0, v9, v113 :: v_dual_fmac_f32 v31, v7, v136
	s_delay_alu instid0(VALU_DEP_3) | instskip(NEXT) | instid1(VALU_DEP_2)
	v_fmac_f32_e32 v162, v9, v112
	v_fma_f32 v181, v8, v112, -v0
	ds_load_2addr_b64 v[6:9], v161 offset0:32 offset1:228
	s_wait_loadcnt 0x2
	v_dual_mul_f32 v161, v98, v117 :: v_dual_add_f32 v240, v19, v162
	s_delay_alu instid0(VALU_DEP_1) | instskip(SKIP_4) | instid1(VALU_DEP_3)
	v_dual_add_f32 v40, v184, v181 :: v_dual_fmac_f32 v161, v99, v116
	s_wait_dscnt 0x0
	v_mul_f32_e32 v0, v7, v139
	v_mul_f32_e32 v186, v6, v139
	;; [unrolled: 1-line block ×3, first 2 shown]
	v_fma_f32 v185, v6, v138, -v0
	v_mul_f32_e32 v0, v9, v115
	s_delay_alu instid0(VALU_DEP_4) | instskip(NEXT) | instid1(VALU_DEP_3)
	v_fmac_f32_e32 v186, v7, v138
	v_dual_fmac_f32 v159, v9, v114 :: v_dual_add_f32 v200, v158, v185
	s_delay_alu instid0(VALU_DEP_3)
	v_fma_f32 v167, v8, v114, -v0
	ds_load_2addr_b64 v[6:9], v15 offset0:24 offset1:220
	v_add_f32_e32 v202, v5, v186
	v_add_f32_e32 v36, v23, v159
	v_sub_f32_e32 v4, v158, v185
	v_add_f32_e32 v204, v187, v167
	s_wait_dscnt 0x0
	v_mul_f32_e32 v0, v7, v129
	v_mul_f32_e32 v15, v6, v129
	s_wait_loadcnt 0x1
	v_mul_f32_e32 v21, v8, v109
	s_delay_alu instid0(VALU_DEP_3) | instskip(NEXT) | instid1(VALU_DEP_3)
	v_fma_f32 v165, v6, v128, -v0
	v_dual_mul_f32 v0, v9, v109 :: v_dual_fmac_f32 v15, v7, v128
	s_delay_alu instid0(VALU_DEP_3) | instskip(NEXT) | instid1(VALU_DEP_2)
	v_fmac_f32_e32 v21, v9, v108
	v_fma_f32 v217, v8, v108, -v0
	ds_load_2addr_b64 v[6:9], v34 offset0:40 offset1:236
	s_wait_dscnt 0x0
	v_mul_f32_e32 v0, v7, v131
	v_mul_f32_e32 v166, v6, v131
	;; [unrolled: 1-line block ×3, first 2 shown]
	s_delay_alu instid0(VALU_DEP_3) | instskip(SKIP_1) | instid1(VALU_DEP_4)
	v_fma_f32 v164, v6, v130, -v0
	v_mul_f32_e32 v0, v9, v111
	v_fmac_f32_e32 v166, v7, v130
	s_delay_alu instid0(VALU_DEP_4) | instskip(NEXT) | instid1(VALU_DEP_3)
	v_fmac_f32_e32 v20, v9, v110
	v_fma_f32 v203, v8, v110, -v0
	v_mul_f32_e32 v0, v99, v117
	v_add_f32_e32 v8, v25, v31
	s_delay_alu instid0(VALU_DEP_2) | instskip(SKIP_4) | instid1(VALU_DEP_2)
	v_fma_f32 v163, v98, v116, -v0
	global_load_b128 v[96:99], v[13:14], off offset:34456
	s_wait_loadcnt 0x0
	v_mul_f32_e32 v0, v101, v97
	v_mul_f32_e32 v17, v100, v97
	v_fma_f32 v201, v100, v96, -v0
	s_delay_alu instid0(VALU_DEP_2)
	v_fmac_f32_e32 v17, v101, v96
	ds_load_2addr_b64 v[100:103], v180 offset0:8 offset1:204
	s_wait_dscnt 0x0
	v_mul_f32_e32 v0, v101, v119
	v_mul_f32_e32 v189, v100, v119
	;; [unrolled: 1-line block ×3, first 2 shown]
	s_delay_alu instid0(VALU_DEP_3) | instskip(NEXT) | instid1(VALU_DEP_3)
	v_fma_f32 v188, v100, v118, -v0
	v_dual_mul_f32 v0, v103, v99 :: v_dual_fmac_f32 v189, v101, v118
	s_delay_alu instid0(VALU_DEP_3) | instskip(NEXT) | instid1(VALU_DEP_3)
	v_fmac_f32_e32 v16, v103, v98
	v_add_f32_e32 v22, v163, v188
	s_delay_alu instid0(VALU_DEP_3)
	v_fma_f32 v197, v102, v98, -v0
	global_load_b128 v[100:103], v[13:14], off offset:34472
	ds_load_2addr_b64 v[0:3], v33 offset0:24 offset1:220
	v_add_f32_e32 v14, v161, v189
	v_add_f32_e32 v43, v17, v16
	v_add_f32_e32 v38, v201, v197
	s_wait_dscnt 0x0
	v_mul_f32_e32 v6, v1, v105
	v_mul_f32_e32 v11, v0, v105
	s_delay_alu instid0(VALU_DEP_2) | instskip(NEXT) | instid1(VALU_DEP_2)
	v_fma_f32 v160, v0, v104, -v6
	v_fmac_f32_e32 v11, v1, v104
	s_delay_alu instid0(VALU_DEP_1) | instskip(SKIP_3) | instid1(VALU_DEP_2)
	v_dual_add_f32 v195, v164, v160 :: v_dual_add_f32 v198, v166, v11
	s_wait_loadcnt 0x0
	v_dual_sub_f32 v11, v166, v11 :: v_dual_mul_f32 v0, v3, v101
	v_mul_f32_e32 v182, v2, v101
	v_fma_f32 v196, v2, v100, -v0
	s_delay_alu instid0(VALU_DEP_2)
	v_fmac_f32_e32 v182, v3, v100
	ds_load_2addr_b64 v[0:3], v32 offset0:40 offset1:236
	v_dual_add_f32 v37, v203, v196 :: v_dual_add_f32 v42, v20, v182
	s_wait_dscnt 0x0
	v_mul_f32_e32 v6, v1, v107
	v_mul_f32_e32 v10, v0, v107
	v_mul_f32_e32 v18, v2, v103
	s_delay_alu instid0(VALU_DEP_3) | instskip(SKIP_3) | instid1(VALU_DEP_4)
	v_fma_f32 v241, v0, v106, -v6
	v_mul_f32_e32 v0, v3, v103
	v_add_f32_e32 v6, v151, v148
	v_fmac_f32_e32 v10, v1, v106
	v_dual_fmac_f32 v18, v3, v102 :: v_dual_add_f32 v33, v165, v241
	s_delay_alu instid0(VALU_DEP_4) | instskip(NEXT) | instid1(VALU_DEP_4)
	v_fma_f32 v190, v2, v102, -v0
	v_add_f32_e32 v0, v6, v200
	s_delay_alu instid0(VALU_DEP_4) | instskip(NEXT) | instid1(VALU_DEP_4)
	v_add_f32_e32 v26, v15, v10
	v_add_f32_e32 v32, v21, v18
	v_sub_f32_e32 v10, v15, v10
	s_delay_alu instid0(VALU_DEP_4) | instskip(SKIP_2) | instid1(VALU_DEP_2)
	v_dual_add_f32 v34, v217, v190 :: v_dual_add_f32 v7, v28, v0
	v_add_f32_e32 v0, v8, v202
	v_sub_f32_e32 v15, v164, v160
	v_add_f32_e32 v9, v24, v0
	v_add_f32_e32 v0, v40, v204
	s_delay_alu instid0(VALU_DEP_1) | instskip(SKIP_1) | instid1(VALU_DEP_1)
	v_add_f32_e32 v41, v232, v0
	v_add_f32_e32 v0, v240, v36
	;; [unrolled: 1-line block ×3, first 2 shown]
	ds_load_2addr_b64 v[0:3], v233 offset1:196
	s_wait_dscnt 0x0
	v_dual_add_f32 v245, v0, v7 :: v_dual_add_f32 v0, v195, v33
	v_add_f32_e32 v246, v1, v9
	v_dual_add_f32 v156, v2, v41 :: v_dual_add_f32 v157, v3, v244
	s_delay_alu instid0(VALU_DEP_3) | instskip(NEXT) | instid1(VALU_DEP_3)
	v_dual_fmamk_f32 v158, v7, 0xbf955555, v245 :: v_dual_add_f32 v199, v22, v0
	v_dual_add_f32 v0, v198, v26 :: v_dual_fmamk_f32 v185, v9, 0xbf955555, v246
	s_delay_alu instid0(VALU_DEP_1) | instskip(NEXT) | instid1(VALU_DEP_1)
	v_dual_add_f32 v35, v14, v0 :: v_dual_add_f32 v0, v37, v34
	v_add_f32_e32 v39, v38, v0
	v_add_f32_e32 v0, v42, v32
	s_delay_alu instid0(VALU_DEP_1)
	v_add_f32_e32 v180, v43, v0
	ds_load_2addr_b64 v[0:3], v243 offset0:8 offset1:204
	s_wait_dscnt 0x0
	v_add_f32_e32 v13, v1, v35
	v_dual_add_f32 v152, v2, v39 :: v_dual_add_f32 v153, v3, v180
	v_dual_sub_f32 v1, v5, v186 :: v_dual_sub_f32 v2, v151, v148
	v_sub_f32_e32 v3, v25, v31
	v_sub_f32_e32 v5, v149, v150
	;; [unrolled: 1-line block ×5, first 2 shown]
	v_add_f32_e32 v12, v0, v199
	v_add_f32_e32 v6, v5, v2
	v_sub_f32_e32 v150, v25, v3
	v_add_f32_e32 v149, v25, v3
	v_sub_f32_e32 v3, v3, v1
	v_sub_f32_e32 v31, v8, v202
	v_dual_add_f32 v151, v6, v4 :: v_dual_mul_f32 v6, 0x3d64c772, v29
	v_mul_f32_e32 v150, 0xbf08b237, v150
	v_sub_f32_e32 v148, v24, v8
	v_sub_f32_e32 v8, v5, v2
	v_add_f32_e32 v149, v149, v1
	v_fma_f32 v6, 0x3f3bfb3b, v27, -v6
	v_fma_f32 v0, 0x3f5ff5aa, v3, -v150
	v_sub_f32_e32 v2, v2, v4
	v_mul_f32_e32 v186, 0xbf08b237, v8
	v_sub_f32_e32 v24, v202, v24
	v_add_f32_e32 v8, v6, v158
	v_fmac_f32_e32 v0, 0x3ee1c552, v149
	v_sub_f32_e32 v1, v1, v25
	v_fma_f32 v218, 0x3f5ff5aa, v2, -v186
	v_mul_f32_e32 v24, 0x3f4a47b2, v24
	v_mul_f32_e32 v7, 0x3d64c772, v148
	v_sub_f32_e32 v6, v8, v0
	v_add_f32_e32 v8, v0, v8
	v_sub_f32_e32 v0, v200, v28
	v_sub_f32_e32 v28, v4, v5
	v_dual_mul_f32 v4, 0xbf5ff5aa, v3 :: v_dual_mul_f32 v5, 0xbf5ff5aa, v2
	v_fma_f32 v3, 0xbf3bfb3b, v31, -v24
	s_delay_alu instid0(VALU_DEP_4) | instskip(SKIP_1) | instid1(VALU_DEP_4)
	v_mul_f32_e32 v0, 0x3f4a47b2, v0
	v_fma_f32 v7, 0x3f3bfb3b, v31, -v7
	v_dual_fmac_f32 v4, 0xbeae86e6, v1 :: v_dual_fmac_f32 v5, 0xbeae86e6, v28
	v_fmamk_f32 v24, v148, 0x3d64c772, v24
	s_delay_alu instid0(VALU_DEP_4) | instskip(SKIP_1) | instid1(VALU_DEP_4)
	v_fma_f32 v2, 0xbf3bfb3b, v27, -v0
	v_add_f32_e32 v27, v3, v185
	v_dual_fmac_f32 v4, 0x3ee1c552, v149 :: v_dual_fmac_f32 v5, 0x3ee1c552, v151
	s_delay_alu instid0(VALU_DEP_3) | instskip(SKIP_1) | instid1(VALU_DEP_3)
	v_dual_fmamk_f32 v0, v29, 0x3d64c772, v0 :: v_dual_add_f32 v25, v2, v158
	v_dual_add_f32 v9, v7, v185 :: v_dual_fmac_f32 v218, 0x3ee1c552, v151
	v_sub_f32_e32 v3, v27, v5
	s_delay_alu instid0(VALU_DEP_3)
	v_dual_add_f32 v5, v5, v27 :: v_dual_add_f32 v2, v4, v25
	v_sub_f32_e32 v4, v25, v4
	v_fmamk_f32 v25, v1, 0x3eae86e6, v150
	v_fmamk_f32 v27, v28, 0x3eae86e6, v186
	v_add_f32_e32 v28, v0, v158
	v_add_f32_e32 v24, v24, v185
	;; [unrolled: 1-line block ×3, first 2 shown]
	v_fmac_f32_e32 v25, 0x3ee1c552, v149
	v_fmac_f32_e32 v27, 0x3ee1c552, v151
	v_sub_f32_e32 v9, v9, v218
	v_fmamk_f32 v35, v35, 0xbf955555, v13
	v_add_nc_u32_e32 v218, 0x4e00, v233
	s_delay_alu instid0(VALU_DEP_4)
	v_dual_add_f32 v0, v25, v28 :: v_dual_sub_f32 v1, v24, v27
	v_dual_sub_f32 v185, v28, v25 :: v_dual_add_f32 v186, v27, v24
	ds_store_b64 v233, v[2:3] offset:12544
	ds_store_b64 v233, v[6:7] offset:18816
	;; [unrolled: 1-line block ×6, first 2 shown]
	ds_store_2addr_b64 v233, v[245:246], v[156:157] offset1:196
	v_sub_f32_e32 v6, v187, v167
	v_dual_sub_f32 v7, v23, v159 :: v_dual_sub_f32 v8, v184, v181
	v_dual_sub_f32 v9, v19, v162 :: v_dual_sub_f32 v0, v242, v183
	v_sub_f32_e32 v1, v154, v155
	v_sub_f32_e32 v23, v204, v232
	;; [unrolled: 1-line block ×5, first 2 shown]
	v_add_f32_e32 v28, v0, v8
	v_sub_f32_e32 v29, v0, v8
	v_sub_f32_e32 v30, v6, v0
	v_dual_add_f32 v0, v1, v9 :: v_dual_mul_f32 v23, 0x3f4a47b2, v23
	v_fmamk_f32 v4, v41, 0xbf955555, v156
	v_mul_f32_e32 v25, 0x3f4a47b2, v25
	v_fmamk_f32 v5, v244, 0xbf955555, v157
	s_delay_alu instid0(VALU_DEP_4) | instskip(SKIP_4) | instid1(VALU_DEP_4)
	v_add_f32_e32 v148, v0, v7
	v_fmamk_f32 v0, v24, 0x3d64c772, v23
	v_dual_sub_f32 v2, v188, v163 :: v_dual_sub_f32 v3, v189, v161
	v_sub_f32_e32 v19, v165, v241
	v_sub_f32_e32 v31, v1, v9
	v_dual_add_f32 v149, v0, v4 :: v_dual_fmamk_f32 v0, v27, 0x3d64c772, v25
	v_sub_f32_e32 v41, v7, v1
	v_sub_f32_e32 v1, v26, v14
	;; [unrolled: 1-line block ×4, first 2 shown]
	v_add_f32_e32 v150, v0, v5
	v_sub_f32_e32 v0, v33, v22
	v_dual_sub_f32 v22, v22, v195 :: v_dual_mul_f32 v29, 0xbf08b237, v29
	v_dual_mul_f32 v31, 0xbf08b237, v31 :: v_dual_sub_f32 v14, v14, v198
	s_delay_alu instid0(VALU_DEP_3)
	v_mul_f32_e32 v161, 0x3f4a47b2, v0
	v_add_f32_e32 v155, v2, v15
	v_sub_f32_e32 v157, v19, v2
	v_add_f32_e32 v2, v3, v11
	v_dual_sub_f32 v159, v10, v3 :: v_dual_mul_f32 v162, 0x3f4a47b2, v1
	v_mul_f32_e32 v156, 0xbf08b237, v156
	v_mul_f32_e32 v158, 0xbf08b237, v158
	v_fmamk_f32 v163, v199, 0xbf955555, v12
	v_fmamk_f32 v0, v22, 0x3d64c772, v161
	v_dual_add_f32 v28, v28, v6 :: v_dual_fmamk_f32 v151, v30, 0x3eae86e6, v29
	v_dual_fmamk_f32 v154, v41, 0x3eae86e6, v31 :: v_dual_add_f32 v155, v155, v19
	v_add_f32_e32 v160, v2, v10
	s_delay_alu instid0(VALU_DEP_4) | instskip(SKIP_4) | instid1(VALU_DEP_4)
	v_add_f32_e32 v164, v0, v163
	v_fmamk_f32 v0, v14, 0x3d64c772, v162
	v_fmamk_f32 v166, v159, 0x3eae86e6, v158
	;; [unrolled: 1-line block ×3, first 2 shown]
	v_fmac_f32_e32 v151, 0x3ee1c552, v28
	v_dual_fmac_f32 v154, 0x3ee1c552, v148 :: v_dual_add_f32 v165, v0, v35
	s_delay_alu instid0(VALU_DEP_3) | instskip(SKIP_1) | instid1(VALU_DEP_3)
	v_dual_fmac_f32 v166, 0x3ee1c552, v160 :: v_dual_fmac_f32 v167, 0x3ee1c552, v155
	v_sub_f32_e32 v6, v8, v6
	v_add_f32_e32 v0, v154, v149
	v_sub_f32_e32 v1, v150, v151
	s_delay_alu instid0(VALU_DEP_4)
	v_dual_add_f32 v2, v166, v164 :: v_dual_sub_f32 v3, v165, v167
	v_dual_sub_f32 v8, v40, v204 :: v_dual_add_nc_u32 v241, 0x1e00, v233
	v_sub_f32_e32 v7, v9, v7
	v_mul_f32_e32 v9, 0xbf5ff5aa, v6
	v_sub_f32_e32 v15, v15, v19
	v_sub_f32_e32 v10, v11, v10
	ds_store_2addr_b64 v241, v[0:1], v[2:3] offset0:20 offset1:216
	v_dual_sub_f32 v36, v240, v36 :: v_dual_fmac_f32 v9, 0xbeae86e6, v30
	v_dual_mul_f32 v19, 0xbf5ff5aa, v7 :: v_dual_sub_f32 v30, v195, v33
	v_dual_sub_f32 v26, v198, v26 :: v_dual_mul_f32 v11, 0xbf5ff5aa, v15
	v_mul_f32_e32 v33, 0xbf5ff5aa, v10
	v_fma_f32 v0, 0xbf3bfb3b, v8, -v23
	s_delay_alu instid0(VALU_DEP_4)
	v_fmac_f32_e32 v19, 0xbeae86e6, v41
	v_fma_f32 v1, 0xbf3bfb3b, v36, -v25
	v_fmac_f32_e32 v11, 0xbeae86e6, v157
	v_fmac_f32_e32 v33, 0xbeae86e6, v159
	v_add_f32_e32 v23, v0, v4
	v_fma_f32 v0, 0xbf3bfb3b, v30, -v161
	v_fma_f32 v2, 0xbf3bfb3b, v26, -v162
	v_add_f32_e32 v25, v1, v5
	v_fmac_f32_e32 v9, 0x3ee1c552, v28
	s_delay_alu instid0(VALU_DEP_4) | instskip(NEXT) | instid1(VALU_DEP_4)
	v_dual_fmac_f32 v19, 0x3ee1c552, v148 :: v_dual_add_f32 v40, v0, v163
	v_add_f32_e32 v41, v2, v35
	v_fmac_f32_e32 v33, 0x3ee1c552, v160
	v_fmac_f32_e32 v11, 0x3ee1c552, v155
	s_delay_alu instid0(VALU_DEP_4) | instskip(SKIP_1) | instid1(VALU_DEP_4)
	v_dual_add_f32 v0, v19, v23 :: v_dual_sub_f32 v1, v25, v9
	v_add_nc_u32_e32 v240, 0x3600, v233
	v_add_f32_e32 v2, v33, v40
	s_delay_alu instid0(VALU_DEP_4)
	v_sub_f32_e32 v3, v41, v11
	v_fma_f32 v6, 0x3f5ff5aa, v6, -v29
	v_fma_f32 v7, 0x3f5ff5aa, v7, -v31
	v_add_nc_u32_e32 v232, 0x6800, v233
	v_add_nc_u32_e32 v242, 0x8000, v233
	ds_store_2addr_b64 v240, v[0:1], v[2:3] offset0:36 offset1:232
	v_dual_mul_f32 v0, 0x3d64c772, v24 :: v_dual_mul_f32 v1, 0x3d64c772, v27
	v_fmac_f32_e32 v6, 0x3ee1c552, v28
	v_fmac_f32_e32 v7, 0x3ee1c552, v148
	v_add_nc_u32_e32 v244, 0x9800, v233
	s_delay_alu instid0(VALU_DEP_4) | instskip(SKIP_4) | instid1(VALU_DEP_4)
	v_fma_f32 v0, 0x3f3bfb3b, v8, -v0
	v_fma_f32 v1, 0x3f3bfb3b, v36, -v1
	;; [unrolled: 1-line block ×4, first 2 shown]
	v_add_nc_u32_e32 v204, 0x4800, v233
	v_dual_add_f32 v4, v0, v4 :: v_dual_add_f32 v5, v1, v5
	v_mul_f32_e32 v0, 0x3d64c772, v22
	v_mul_f32_e32 v1, 0x3d64c772, v14
	v_fmac_f32_e32 v8, 0x3ee1c552, v160
	v_fmac_f32_e32 v10, 0x3ee1c552, v155
	v_add_nc_u32_e32 v202, 0x7a00, v233
	v_fma_f32 v0, 0x3f3bfb3b, v30, -v0
	v_fma_f32 v1, 0x3f3bfb3b, v26, -v1
	v_add_nc_u32_e32 v200, 0x5400, v233
	v_add_nc_u32_e32 v199, 0x6e00, v233
	;; [unrolled: 1-line block ×3, first 2 shown]
	v_add_f32_e32 v14, v0, v163
	v_add_f32_e32 v15, v1, v35
	v_dual_sub_f32 v0, v4, v7 :: v_dual_add_f32 v1, v6, v5
	s_delay_alu instid0(VALU_DEP_3) | instskip(NEXT) | instid1(VALU_DEP_3)
	v_sub_f32_e32 v2, v14, v8
	v_add_f32_e32 v3, v10, v15
	ds_store_2addr_b64 v218, v[0:1], v[2:3] offset0:52 offset1:248
	v_dual_add_f32 v0, v7, v4 :: v_dual_sub_f32 v1, v5, v6
	v_add_f32_e32 v2, v8, v14
	v_dual_sub_f32 v3, v15, v10 :: v_dual_sub_f32 v6, v197, v201
	v_dual_sub_f32 v4, v217, v190 :: v_dual_sub_f32 v7, v16, v17
	v_sub_f32_e32 v5, v21, v18
	ds_store_2addr_b64 v232, v[0:1], v[2:3] offset0:4 offset1:200
	v_dual_sub_f32 v0, v23, v19 :: v_dual_add_f32 v1, v9, v25
	v_sub_f32_e32 v2, v40, v33
	v_add_f32_e32 v3, v11, v41
	v_sub_f32_e32 v11, v38, v37
	v_dual_fmamk_f32 v9, v180, 0xbf955555, v153 :: v_dual_sub_f32 v10, v37, v34
	v_fmamk_f32 v8, v39, 0xbf955555, v152
	ds_store_2addr_b64 v242, v[0:1], v[2:3] offset0:20 offset1:216
	v_sub_f32_e32 v0, v149, v154
	v_add_f32_e32 v1, v151, v150
	v_dual_sub_f32 v2, v164, v166 :: v_dual_add_f32 v3, v167, v165
	ds_store_2addr_b64 v244, v[0:1], v[2:3] offset0:36 offset1:232
	ds_store_2addr_b64 v243, v[12:13], v[152:153] offset0:8 offset1:204
	v_dual_sub_f32 v0, v203, v196 :: v_dual_sub_f32 v1, v20, v182
	v_dual_sub_f32 v13, v43, v42 :: v_dual_sub_f32 v12, v42, v32
	v_sub_f32_e32 v22, v4, v6
	s_delay_alu instid0(VALU_DEP_3) | instskip(SKIP_2) | instid1(VALU_DEP_3)
	v_add_f32_e32 v2, v6, v0
	v_sub_f32_e32 v3, v6, v0
	v_dual_sub_f32 v15, v7, v1 :: v_dual_sub_f32 v14, v0, v4
	v_dual_add_f32 v0, v7, v1 :: v_dual_add_f32 v17, v2, v4
	v_mul_f32_e32 v2, 0x3d64c772, v13
	v_dual_sub_f32 v16, v1, v5 :: v_dual_mul_f32 v1, 0x3d64c772, v11
	s_delay_alu instid0(VALU_DEP_4) | instskip(SKIP_1) | instid1(VALU_DEP_4)
	v_mul_f32_e32 v15, 0xbf08b237, v15
	v_mul_f32_e32 v19, 0xbf08b237, v3
	v_fma_f32 v2, 0x3f3bfb3b, v12, -v2
	v_add_f32_e32 v18, v0, v5
	v_fma_f32 v1, 0x3f3bfb3b, v10, -v1
	v_sub_f32_e32 v23, v5, v7
	v_fma_f32 v21, 0x3f5ff5aa, v14, -v19
	v_add_f32_e32 v20, v2, v9
	v_fma_f32 v2, 0x3f5ff5aa, v16, -v15
	v_add_f32_e32 v3, v1, v8
	v_mul_f32_e32 v6, 0xbf5ff5aa, v16
	v_fmac_f32_e32 v21, 0x3ee1c552, v17
	v_mul_f32_e32 v7, 0xbf5ff5aa, v14
	v_fmac_f32_e32 v2, 0x3ee1c552, v18
	v_add_nc_u32_e32 v217, 0x3000, v233
	s_delay_alu instid0(VALU_DEP_4) | instskip(NEXT) | instid1(VALU_DEP_4)
	v_dual_fmac_f32 v6, 0xbeae86e6, v23 :: v_dual_add_f32 v1, v21, v20
	v_fmac_f32_e32 v7, 0xbeae86e6, v22
	s_delay_alu instid0(VALU_DEP_4) | instskip(SKIP_2) | instid1(VALU_DEP_4)
	v_sub_f32_e32 v0, v3, v2
	v_dual_add_f32 v2, v2, v3 :: v_dual_sub_f32 v3, v20, v21
	v_dual_sub_f32 v20, v34, v38 :: v_dual_sub_f32 v21, v32, v43
	v_dual_fmac_f32 v6, 0x3ee1c552, v18 :: v_dual_fmac_f32 v7, 0x3ee1c552, v17
	v_add_nc_u32_e32 v203, 0x6200, v233
	s_delay_alu instid0(VALU_DEP_3) | instskip(SKIP_3) | instid1(VALU_DEP_4)
	v_dual_mul_f32 v20, 0x3f4a47b2, v20 :: v_dual_mul_f32 v21, 0x3f4a47b2, v21
	v_add_nc_u32_e32 v197, 0x9200, v233
	v_add_nc_u32_e32 v40, 0x2400, v233
	;; [unrolled: 1-line block ×3, first 2 shown]
	v_fma_f32 v4, 0xbf3bfb3b, v10, -v20
	v_fma_f32 v5, 0xbf3bfb3b, v12, -v21
	v_add_nc_u32_e32 v196, 0x9e00, v233
	s_delay_alu instid0(VALU_DEP_3) | instskip(NEXT) | instid1(VALU_DEP_3)
	v_add_f32_e32 v10, v4, v8
	v_add_f32_e32 v12, v5, v9
	s_delay_alu instid0(VALU_DEP_1) | instskip(SKIP_4) | instid1(VALU_DEP_3)
	v_dual_add_f32 v4, v6, v10 :: v_dual_sub_f32 v5, v12, v7
	v_dual_sub_f32 v6, v10, v6 :: v_dual_add_f32 v7, v7, v12
	v_dual_fmamk_f32 v10, v11, 0x3d64c772, v20 :: v_dual_fmamk_f32 v11, v13, 0x3d64c772, v21
	v_fmamk_f32 v12, v23, 0x3eae86e6, v15
	v_fmamk_f32 v13, v22, 0x3eae86e6, v19
	v_dual_add_f32 v10, v10, v8 :: v_dual_add_f32 v11, v11, v9
	s_delay_alu instid0(VALU_DEP_2) | instskip(NEXT) | instid1(VALU_DEP_1)
	v_dual_fmac_f32 v12, 0x3ee1c552, v18 :: v_dual_fmac_f32 v13, 0x3ee1c552, v17
	v_dual_add_f32 v8, v12, v10 :: v_dual_sub_f32 v9, v11, v13
	v_dual_sub_f32 v10, v10, v12 :: v_dual_add_f32 v11, v13, v11
	ds_store_b64 v233, v[4:5] offset:17248
	ds_store_b64 v233, v[0:1] offset:23520
	;; [unrolled: 1-line block ×6, first 2 shown]
	global_wb scope:SCOPE_SE
	s_wait_dscnt 0x0
	s_barrier_signal -1
	s_barrier_wait -1
	global_inv scope:SCOPE_SE
	global_load_b64 v[4:5], v233, s[8:9] offset:43904
	ds_load_2addr_b64 v[0:3], v233 offset1:196
	s_add_nc_u64 s[8:9], s[8:9], 0xab80
	s_clause 0x9
	global_load_b64 v[10:11], v233, s[8:9] offset:12544
	global_load_b64 v[154:155], v233, s[8:9] offset:3136
	;; [unrolled: 1-line block ×10, first 2 shown]
	s_wait_loadcnt_dscnt 0xa00
	v_mul_f32_e32 v6, v1, v5
	v_mul_f32_e32 v7, v0, v5
	s_delay_alu instid0(VALU_DEP_2) | instskip(NEXT) | instid1(VALU_DEP_2)
	v_fma_f32 v6, v0, v4, -v6
	v_fmac_f32_e32 v7, v1, v4
	global_load_b64 v[0:1], v233, s[8:9] offset:1568
	ds_store_b64 v233, v[6:7]
	global_load_b64 v[6:7], v233, s[8:9] offset:6272
	s_wait_loadcnt 0x1
	v_mul_f32_e32 v4, v3, v1
	v_mul_f32_e32 v29, v2, v1
	s_delay_alu instid0(VALU_DEP_2) | instskip(NEXT) | instid1(VALU_DEP_2)
	v_fma_f32 v28, v2, v0, -v4
	v_fmac_f32_e32 v29, v3, v0
	ds_load_2addr_b64 v[0:3], v231 offset0:16 offset1:212
	s_wait_loadcnt_dscnt 0x0
	v_mul_f32_e32 v4, v1, v7
	v_mul_f32_e32 v25, v0, v7
	s_delay_alu instid0(VALU_DEP_2) | instskip(NEXT) | instid1(VALU_DEP_2)
	v_fma_f32 v24, v0, v6, -v4
	v_fmac_f32_e32 v25, v1, v6
	global_load_b64 v[0:1], v233, s[8:9] offset:7840
	s_wait_loadcnt 0x0
	v_mul_f32_e32 v4, v3, v1
	v_mul_f32_e32 v27, v2, v1
	s_delay_alu instid0(VALU_DEP_2) | instskip(NEXT) | instid1(VALU_DEP_2)
	v_fma_f32 v26, v2, v0, -v4
	v_fmac_f32_e32 v27, v3, v0
	ds_load_2addr_b64 v[0:3], v217 offset0:32 offset1:228
	s_wait_dscnt 0x0
	v_mul_f32_e32 v4, v1, v11
	v_mul_f32_e32 v13, v0, v11
	s_delay_alu instid0(VALU_DEP_2) | instskip(NEXT) | instid1(VALU_DEP_2)
	v_fma_f32 v12, v0, v10, -v4
	v_fmac_f32_e32 v13, v1, v10
	global_load_b64 v[0:1], v233, s[8:9] offset:14112
	s_wait_loadcnt 0x0
	v_mul_f32_e32 v4, v3, v1
	v_mul_f32_e32 v11, v2, v1
	s_delay_alu instid0(VALU_DEP_2) | instskip(NEXT) | instid1(VALU_DEP_2)
	v_fma_f32 v10, v2, v0, -v4
	v_fmac_f32_e32 v11, v3, v0
	ds_load_2addr_b64 v[0:3], v204 offset0:48 offset1:244
	s_wait_dscnt 0x0
	v_mul_f32_e32 v4, v1, v15
	v_mul_f32_e32 v17, v0, v15
	s_delay_alu instid0(VALU_DEP_2) | instskip(NEXT) | instid1(VALU_DEP_2)
	v_fma_f32 v16, v0, v14, -v4
	v_fmac_f32_e32 v17, v1, v14
	global_load_b64 v[0:1], v233, s[8:9] offset:20384
	s_wait_loadcnt 0x0
	v_mul_f32_e32 v4, v3, v1
	v_mul_f32_e32 v15, v2, v1
	s_delay_alu instid0(VALU_DEP_2) | instskip(NEXT) | instid1(VALU_DEP_2)
	v_fma_f32 v14, v2, v0, -v4
	v_fmac_f32_e32 v15, v3, v0
	ds_load_2addr_b64 v[0:3], v203 offset1:196
	s_wait_dscnt 0x0
	v_mul_f32_e32 v4, v1, v19
	v_mul_f32_e32 v21, v0, v19
	s_delay_alu instid0(VALU_DEP_2) | instskip(NEXT) | instid1(VALU_DEP_2)
	v_fma_f32 v20, v0, v18, -v4
	v_fmac_f32_e32 v21, v1, v18
	global_load_b64 v[0:1], v233, s[8:9] offset:26656
	s_wait_loadcnt 0x0
	v_mul_f32_e32 v4, v3, v1
	v_mul_f32_e32 v19, v2, v1
	s_delay_alu instid0(VALU_DEP_2) | instskip(NEXT) | instid1(VALU_DEP_2)
	v_fma_f32 v18, v2, v0, -v4
	v_fmac_f32_e32 v19, v3, v0
	ds_load_2addr_b64 v[0:3], v202 offset0:16 offset1:212
	s_wait_dscnt 0x0
	v_mul_f32_e32 v4, v1, v23
	v_mul_f32_e32 v149, v0, v23
	s_delay_alu instid0(VALU_DEP_2) | instskip(NEXT) | instid1(VALU_DEP_2)
	v_fma_f32 v148, v0, v22, -v4
	v_fmac_f32_e32 v149, v1, v22
	global_load_b64 v[0:1], v233, s[8:9] offset:32928
	s_wait_loadcnt 0x0
	v_mul_f32_e32 v4, v3, v1
	v_mul_f32_e32 v23, v2, v1
	s_delay_alu instid0(VALU_DEP_2) | instskip(NEXT) | instid1(VALU_DEP_2)
	v_fma_f32 v22, v2, v0, -v4
	v_fmac_f32_e32 v23, v3, v0
	ds_load_2addr_b64 v[0:3], v197 offset0:32 offset1:228
	;; [unrolled: 14-line block ×7, first 2 shown]
	s_wait_dscnt 0x0
	v_mul_f32_e32 v4, v1, v246
	v_mul_f32_e32 v189, v0, v246
	s_delay_alu instid0(VALU_DEP_2) | instskip(NEXT) | instid1(VALU_DEP_2)
	v_fma_f32 v188, v0, v245, -v4
	v_fmac_f32_e32 v189, v1, v245
	global_load_b64 v[0:1], v233, s[8:9] offset:29792
	s_wait_loadcnt 0x0
	v_mul_f32_e32 v4, v3, v1
	v_mul_f32_e32 v246, v2, v1
	s_delay_alu instid0(VALU_DEP_2)
	v_fma_f32 v245, v2, v0, -v4
	global_load_b64 v[4:5], v233, s[8:9] offset:34496
	v_fmac_f32_e32 v246, v3, v0
	ds_load_2addr_b64 v[0:3], v198 offset0:24 offset1:220
	s_wait_loadcnt_dscnt 0x0
	v_mul_f32_e32 v6, v1, v5
	v_mul_f32_e32 v9, v0, v5
	s_delay_alu instid0(VALU_DEP_2) | instskip(NEXT) | instid1(VALU_DEP_2)
	v_fma_f32 v8, v0, v4, -v6
	v_fmac_f32_e32 v9, v1, v4
	global_load_b64 v[0:1], v233, s[8:9] offset:36064
	s_wait_loadcnt 0x0
	v_mul_f32_e32 v4, v3, v1
	v_mul_f32_e32 v7, v2, v1
	s_delay_alu instid0(VALU_DEP_2)
	v_fma_f32 v6, v2, v0, -v4
	global_load_b64 v[4:5], v233, s[8:9] offset:40768
	v_fmac_f32_e32 v7, v3, v0
	ds_load_2addr_b64 v[0:3], v196 offset0:40 offset1:236
	s_wait_loadcnt_dscnt 0x0
	v_mul_f32_e32 v30, v1, v5
	v_mul_f32_e32 v31, v0, v5
	s_delay_alu instid0(VALU_DEP_2) | instskip(NEXT) | instid1(VALU_DEP_2)
	v_fma_f32 v30, v0, v4, -v30
	v_fmac_f32_e32 v31, v1, v4
	global_load_b64 v[0:1], v233, s[8:9] offset:42336
	s_wait_loadcnt 0x0
	v_mul_f32_e32 v4, v3, v1
	v_mul_f32_e32 v5, v2, v1
	s_delay_alu instid0(VALU_DEP_2) | instskip(NEXT) | instid1(VALU_DEP_2)
	v_fma_f32 v4, v2, v0, -v4
	v_dual_fmac_f32 v5, v3, v0 :: v_dual_add_nc_u32 v0, 0x600, v233
	ds_store_2addr_b64 v0, v[28:29], v[156:157] offset0:4 offset1:200
	v_add_nc_u32_e32 v0, 0x1200, v233
	ds_store_2addr_b64 v0, v[154:155], v[24:25] offset0:12 offset1:208
	v_add_nc_u32_e32 v0, 0x2a00, v233
	;; [unrolled: 2-line block ×6, first 2 shown]
	ds_store_2addr_b64 v0, v[6:7], v[152:153] offset0:28 offset1:224
	ds_store_2addr_b64 v241, v[26:27], v[160:161] offset0:20 offset1:216
	;; [unrolled: 1-line block ×7, first 2 shown]
	ds_store_b64 v233, v[4:5] offset:42336
	global_wb scope:SCOPE_SE
	s_wait_dscnt 0x0
	s_barrier_signal -1
	s_barrier_wait -1
	global_inv scope:SCOPE_SE
	ds_load_2addr_b64 v[0:3], v231 offset0:16 offset1:212
	ds_load_2addr_b64 v[4:7], v197 offset0:32 offset1:228
	v_dual_mov_b32 v246, v231 :: v_dual_mov_b32 v231, v40
	s_wait_dscnt 0x0
	v_dual_add_f32 v18, v0, v4 :: v_dual_add_f32 v19, v1, v5
	v_dual_sub_f32 v20, v0, v4 :: v_dual_sub_f32 v21, v1, v5
	v_dual_add_f32 v22, v2, v6 :: v_dual_add_f32 v23, v3, v7
	v_dual_sub_f32 v24, v2, v6 :: v_dual_sub_f32 v25, v3, v7
	ds_load_2addr_b64 v[0:3], v217 offset0:32 offset1:228
	ds_load_2addr_b64 v[4:7], v202 offset0:16 offset1:212
	s_wait_dscnt 0x0
	v_dual_add_f32 v26, v0, v4 :: v_dual_add_f32 v27, v1, v5
	v_dual_sub_f32 v28, v0, v4 :: v_dual_sub_f32 v29, v1, v5
	v_dual_add_f32 v30, v2, v6 :: v_dual_add_f32 v31, v3, v7
	v_dual_sub_f32 v32, v2, v6 :: v_dual_sub_f32 v33, v3, v7
	ds_load_2addr_b64 v[0:3], v204 offset0:48 offset1:244
	ds_load_2addr_b64 v[4:7], v203 offset1:196
	s_wait_dscnt 0x0
	v_dual_add_f32 v16, v0, v4 :: v_dual_add_f32 v17, v1, v5
	v_dual_sub_f32 v34, v4, v0 :: v_dual_sub_f32 v35, v5, v1
	v_dual_add_f32 v36, v2, v6 :: v_dual_add_f32 v37, v3, v7
	v_dual_sub_f32 v38, v6, v2 :: v_dual_sub_f32 v39, v7, v3
	ds_load_2addr_b64 v[0:3], v40 offset0:24 offset1:220
	ds_load_2addr_b64 v[4:7], v196 offset0:40 offset1:236
	v_dual_sub_f32 v180, v18, v16 :: v_dual_sub_f32 v181, v16, v26
	v_dual_sub_f32 v182, v17, v27 :: v_dual_sub_f32 v183, v34, v28
	s_delay_alu instid0(VALU_DEP_2) | instskip(NEXT) | instid1(VALU_DEP_2)
	v_dual_sub_f32 v185, v35, v29 :: v_dual_mul_f32 v180, 0x3f4a47b2, v180
	v_mul_f32_e32 v183, 0x3f08b237, v183
	s_wait_dscnt 0x0
	s_delay_alu instid0(VALU_DEP_2)
	v_dual_mul_f32 v185, 0x3f08b237, v185 :: v_dual_add_f32 v40, v0, v4
	v_dual_add_f32 v41, v1, v5 :: v_dual_sub_f32 v42, v0, v4
	v_dual_sub_f32 v43, v1, v5 :: v_dual_add_f32 v0, v2, v6
	v_dual_add_f32 v1, v3, v7 :: v_dual_sub_f32 v2, v2, v6
	v_sub_f32_e32 v3, v3, v7
	ds_load_2addr_b64 v[4:7], v201 offset0:40 offset1:236
	ds_load_2addr_b64 v[8:11], v198 offset0:24 offset1:220
	s_wait_dscnt 0x0
	v_dual_add_f32 v148, v4, v8 :: v_dual_add_f32 v149, v5, v9
	v_dual_sub_f32 v150, v4, v8 :: v_dual_sub_f32 v151, v5, v9
	v_dual_add_f32 v4, v6, v10 :: v_dual_add_f32 v5, v7, v11
	v_dual_sub_f32 v6, v6, v10 :: v_dual_sub_f32 v7, v7, v11
	ds_load_2addr_b64 v[8:11], v200 offset0:56 offset1:252
	ds_load_2addr_b64 v[12:15], v199 offset0:8 offset1:204
	s_wait_dscnt 0x0
	v_add_f32_e32 v152, v8, v12
	v_sub_f32_e32 v154, v12, v8
	v_dual_add_f32 v8, v26, v18 :: v_dual_add_f32 v153, v9, v13
	v_dual_sub_f32 v155, v13, v9 :: v_dual_add_f32 v156, v10, v14
	s_delay_alu instid0(VALU_DEP_2) | instskip(SKIP_2) | instid1(VALU_DEP_2)
	v_dual_add_f32 v157, v11, v15 :: v_dual_add_f32 v160, v16, v8
	v_add_f32_e32 v8, v27, v19
	v_dual_sub_f32 v158, v14, v10 :: v_dual_sub_f32 v159, v15, v11
	v_dual_sub_f32 v16, v19, v17 :: v_dual_add_f32 v161, v17, v8
	v_add_f32_e32 v8, v30, v22
	v_dual_add_f32 v17, v34, v28 :: v_dual_sub_f32 v34, v20, v34
	s_delay_alu instid0(VALU_DEP_3) | instskip(SKIP_1) | instid1(VALU_DEP_4)
	v_mul_f32_e32 v187, 0x3f4a47b2, v16
	v_fmamk_f32 v16, v181, 0x3d64c772, v180
	v_add_f32_e32 v162, v36, v8
	v_add_f32_e32 v8, v31, v23
	v_dual_add_f32 v184, v17, v20 :: v_dual_add_f32 v17, v35, v29
	v_sub_f32_e32 v35, v21, v35
	v_fmamk_f32 v195, v34, 0xbeae86e6, v183
	s_delay_alu instid0(VALU_DEP_4) | instskip(SKIP_3) | instid1(VALU_DEP_1)
	v_add_f32_e32 v163, v37, v8
	ds_load_2addr_b64 v[8:11], v233 offset1:196
	v_add_f32_e32 v186, v17, v21
	v_fmamk_f32 v190, v35, 0xbeae86e6, v185
	v_dual_fmac_f32 v195, 0xbee1c552, v184 :: v_dual_fmac_f32 v190, 0xbee1c552, v186
	s_wait_dscnt 0x0
	v_add_f32_e32 v12, v8, v160
	v_dual_add_f32 v8, v148, v40 :: v_dual_add_f32 v13, v9, v161
	v_dual_add_f32 v14, v10, v162 :: v_dual_add_f32 v15, v11, v163
	s_delay_alu instid0(VALU_DEP_3) | instskip(NEXT) | instid1(VALU_DEP_3)
	v_fmamk_f32 v160, v160, 0xbf955555, v12
	v_add_f32_e32 v164, v152, v8
	v_add_f32_e32 v8, v149, v41
	s_delay_alu instid0(VALU_DEP_3) | instskip(NEXT) | instid1(VALU_DEP_2)
	v_dual_fmamk_f32 v161, v161, 0xbf955555, v13 :: v_dual_add_f32 v188, v16, v160
	v_dual_fmamk_f32 v16, v182, 0x3d64c772, v187 :: v_dual_add_f32 v165, v153, v8
	v_add_f32_e32 v8, v4, v0
	s_delay_alu instid0(VALU_DEP_2) | instskip(NEXT) | instid1(VALU_DEP_4)
	v_add_f32_e32 v189, v16, v161
	v_add_f32_e32 v16, v188, v190
	s_delay_alu instid0(VALU_DEP_3) | instskip(SKIP_1) | instid1(VALU_DEP_4)
	v_add_f32_e32 v166, v156, v8
	v_add_f32_e32 v8, v5, v1
	v_sub_f32_e32 v17, v189, v195
	s_delay_alu instid0(VALU_DEP_2)
	v_add_f32_e32 v167, v157, v8
	ds_load_2addr_b64 v[8:11], v243 offset0:8 offset1:204
	global_wb scope:SCOPE_SE
	s_wait_dscnt 0x0
	s_barrier_signal -1
	s_barrier_wait -1
	global_inv scope:SCOPE_SE
	scratch_load_b32 v245, off, off offset:248 th:TH_LOAD_LU ; 4-byte Folded Reload
	v_dual_add_f32 v8, v8, v164 :: v_dual_add_f32 v9, v9, v165
	v_dual_add_f32 v10, v10, v166 :: v_dual_add_f32 v11, v11, v167
	s_wait_loadcnt 0x0
	ds_store_2addr_b64 v245, v[12:13], v[16:17] offset1:1
	v_sub_f32_e32 v12, v26, v18
	v_mul_f32_e32 v18, 0x3d64c772, v181
	v_dual_sub_f32 v16, v28, v20 :: v_dual_sub_f32 v17, v29, v21
	v_sub_f32_e32 v13, v27, v19
	v_mul_f32_e32 v19, 0x3d64c772, v182
	s_delay_alu instid0(VALU_DEP_4)
	v_fma_f32 v18, 0x3f3bfb3b, v12, -v18
	v_fma_f32 v12, 0xbf3bfb3b, v12, -v180
	v_mul_f32_e32 v21, 0x3f5ff5aa, v16
	v_mul_f32_e32 v27, 0x3f5ff5aa, v17
	v_fma_f32 v19, 0x3f3bfb3b, v13, -v19
	v_add_f32_e32 v18, v18, v160
	v_add_f32_e32 v28, v12, v160
	scratch_load_b32 v160, off, off offset:244 th:TH_LOAD_LU ; 4-byte Folded Reload
	v_fma_f32 v13, 0xbf3bfb3b, v13, -v187
	v_fma_f32 v20, 0xbf5ff5aa, v16, -v183
	v_fmac_f32_e32 v21, 0x3eae86e6, v34
	v_fma_f32 v26, 0xbf5ff5aa, v17, -v185
	v_fmac_f32_e32 v27, 0x3eae86e6, v35
	v_add_f32_e32 v19, v19, v161
	v_add_f32_e32 v29, v13, v161
	s_delay_alu instid0(VALU_DEP_4) | instskip(NEXT) | instid1(VALU_DEP_4)
	v_dual_fmac_f32 v21, 0xbee1c552, v184 :: v_dual_fmac_f32 v26, 0xbee1c552, v186
	v_dual_fmac_f32 v27, 0xbee1c552, v186 :: v_dual_fmac_f32 v20, 0xbee1c552, v184
	s_delay_alu instid0(VALU_DEP_2) | instskip(NEXT) | instid1(VALU_DEP_3)
	v_dual_fmamk_f32 v34, v162, 0xbf955555, v14 :: v_dual_sub_f32 v13, v29, v21
	v_sub_f32_e32 v16, v18, v26
	s_delay_alu instid0(VALU_DEP_3)
	v_dual_add_f32 v12, v27, v28 :: v_dual_add_f32 v17, v20, v19
	ds_store_2addr_b64 v245, v[12:13], v[16:17] offset0:2 offset1:3
	v_dual_add_f32 v12, v26, v18 :: v_dual_sub_f32 v13, v19, v20
	v_dual_sub_f32 v16, v28, v27 :: v_dual_add_f32 v17, v21, v29
	v_dual_sub_f32 v19, v38, v32 :: v_dual_sub_f32 v26, v39, v33
	v_add_f32_e32 v18, v38, v32
	v_sub_f32_e32 v20, v24, v38
	ds_store_2addr_b64 v245, v[12:13], v[16:17] offset0:4 offset1:5
	v_dual_sub_f32 v12, v188, v190 :: v_dual_add_f32 v13, v195, v189
	v_dual_sub_f32 v16, v36, v30 :: v_dual_sub_f32 v17, v37, v31
	v_add_f32_e32 v21, v39, v33
	v_sub_f32_e32 v27, v25, v39
	ds_store_b64 v245, v[12:13] offset:48
	v_dual_sub_f32 v12, v22, v36 :: v_dual_sub_f32 v13, v23, v37
	v_dual_mul_f32 v19, 0x3f08b237, v19 :: v_dual_mul_f32 v26, 0x3f08b237, v26
	v_add_f32_e32 v18, v18, v24
	s_delay_alu instid0(VALU_DEP_3) | instskip(SKIP_1) | instid1(VALU_DEP_4)
	v_dual_mul_f32 v28, 0x3f4a47b2, v12 :: v_dual_mul_f32 v29, 0x3f4a47b2, v13
	v_dual_add_f32 v21, v21, v25 :: v_dual_fmamk_f32 v36, v163, 0xbf955555, v15
	v_fmamk_f32 v38, v27, 0xbeae86e6, v26
	s_delay_alu instid0(VALU_DEP_3) | instskip(SKIP_2) | instid1(VALU_DEP_3)
	v_fmamk_f32 v12, v16, 0x3d64c772, v28
	v_fmamk_f32 v39, v20, 0xbeae86e6, v19
	v_mul_f32_e32 v16, 0x3d64c772, v16
	v_dual_fmac_f32 v38, 0xbee1c552, v21 :: v_dual_add_f32 v35, v12, v34
	v_fmamk_f32 v12, v17, 0x3d64c772, v29
	s_delay_alu instid0(VALU_DEP_4) | instskip(SKIP_1) | instid1(VALU_DEP_3)
	v_fmac_f32_e32 v39, 0xbee1c552, v18
	v_mul_f32_e32 v17, 0x3d64c772, v17
	v_dual_add_f32 v37, v12, v36 :: v_dual_add_f32 v12, v35, v38
	s_delay_alu instid0(VALU_DEP_1)
	v_sub_f32_e32 v13, v37, v39
	s_wait_loadcnt 0x0
	ds_store_2addr_b64 v160, v[14:15], v[12:13] offset1:1
	v_sub_f32_e32 v12, v30, v22
	scratch_load_b32 v30, off, off offset:240 th:TH_LOAD_LU ; 4-byte Folded Reload
	v_dual_sub_f32 v14, v32, v24 :: v_dual_sub_f32 v15, v33, v25
	v_sub_f32_e32 v13, v31, v23
	v_fma_f32 v16, 0x3f3bfb3b, v12, -v16
	v_fma_f32 v12, 0xbf3bfb3b, v12, -v28
	s_delay_alu instid0(VALU_DEP_4) | instskip(NEXT) | instid1(VALU_DEP_4)
	v_dual_mul_f32 v22, 0x3f5ff5aa, v14 :: v_dual_mul_f32 v23, 0x3f5ff5aa, v15
	v_fma_f32 v17, 0x3f3bfb3b, v13, -v17
	v_fma_f32 v13, 0xbf3bfb3b, v13, -v29
	v_fma_f32 v19, 0xbf5ff5aa, v14, -v19
	s_delay_alu instid0(VALU_DEP_4) | instskip(SKIP_4) | instid1(VALU_DEP_3)
	v_fmac_f32_e32 v22, 0x3eae86e6, v20
	v_fma_f32 v20, 0xbf5ff5aa, v15, -v26
	v_dual_fmac_f32 v23, 0x3eae86e6, v27 :: v_dual_add_f32 v16, v16, v34
	v_dual_add_f32 v24, v12, v34 :: v_dual_add_f32 v17, v17, v36
	v_add_f32_e32 v25, v13, v36
	v_fmac_f32_e32 v23, 0xbee1c552, v21
	v_fmac_f32_e32 v20, 0xbee1c552, v21
	;; [unrolled: 1-line block ×4, first 2 shown]
	v_sub_f32_e32 v18, v42, v154
	v_add_f32_e32 v12, v23, v24
	s_delay_alu instid0(VALU_DEP_4) | instskip(NEXT) | instid1(VALU_DEP_4)
	v_dual_sub_f32 v14, v16, v20 :: v_dual_sub_f32 v13, v25, v22
	v_add_f32_e32 v15, v19, v17
	v_dual_sub_f32 v21, v43, v155 :: v_dual_fmamk_f32 v26, v165, 0xbf955555, v9
	ds_store_2addr_b64 v160, v[12:13], v[14:15] offset0:2 offset1:3
	v_dual_add_f32 v12, v20, v16 :: v_dual_sub_f32 v13, v17, v19
	v_dual_sub_f32 v14, v24, v23 :: v_dual_add_f32 v15, v22, v25
	v_dual_sub_f32 v17, v154, v150 :: v_dual_sub_f32 v20, v155, v151
	v_dual_add_f32 v16, v154, v150 :: v_dual_add_f32 v19, v155, v151
	ds_store_2addr_b64 v160, v[12:13], v[14:15] offset0:4 offset1:5
	v_sub_f32_e32 v12, v35, v38
	v_dual_add_f32 v13, v39, v37 :: v_dual_sub_f32 v14, v152, v148
	v_sub_f32_e32 v15, v153, v149
	v_dual_mul_f32 v17, 0x3f08b237, v17 :: v_dual_mul_f32 v20, 0x3f08b237, v20
	ds_store_b64 v160, v[12:13] offset:48
	v_dual_sub_f32 v12, v40, v152 :: v_dual_sub_f32 v13, v41, v153
	v_fmamk_f32 v24, v164, 0xbf955555, v8
	v_dual_add_f32 v16, v16, v42 :: v_dual_add_f32 v19, v19, v43
	s_delay_alu instid0(VALU_DEP_3) | instskip(SKIP_1) | instid1(VALU_DEP_2)
	v_dual_mul_f32 v22, 0x3f4a47b2, v12 :: v_dual_mul_f32 v23, 0x3f4a47b2, v13
	v_dual_fmamk_f32 v28, v21, 0xbeae86e6, v20 :: v_dual_fmamk_f32 v29, v18, 0xbeae86e6, v17
	v_fmamk_f32 v12, v14, 0x3d64c772, v22
	v_mul_f32_e32 v14, 0x3d64c772, v14
	s_delay_alu instid0(VALU_DEP_3) | instskip(NEXT) | instid1(VALU_DEP_3)
	v_dual_fmac_f32 v28, 0xbee1c552, v19 :: v_dual_fmac_f32 v29, 0xbee1c552, v16
	v_dual_add_f32 v25, v12, v24 :: v_dual_fmamk_f32 v12, v15, 0x3d64c772, v23
	v_mul_f32_e32 v15, 0x3d64c772, v15
	s_delay_alu instid0(VALU_DEP_2) | instskip(NEXT) | instid1(VALU_DEP_1)
	v_dual_add_f32 v27, v12, v26 :: v_dual_add_f32 v12, v25, v28
	v_sub_f32_e32 v13, v27, v29
	s_wait_loadcnt 0x0
	ds_store_2addr_b64 v30, v[8:9], v[12:13] offset1:1
	v_sub_f32_e32 v8, v148, v40
	v_dual_sub_f32 v12, v150, v42 :: v_dual_sub_f32 v13, v151, v43
	v_sub_f32_e32 v9, v149, v41
	s_delay_alu instid0(VALU_DEP_3) | instskip(SKIP_1) | instid1(VALU_DEP_4)
	v_fma_f32 v14, 0x3f3bfb3b, v8, -v14
	v_fma_f32 v8, 0xbf3bfb3b, v8, -v22
	v_mul_f32_e32 v22, 0x3f5ff5aa, v12
	s_delay_alu instid0(VALU_DEP_4)
	v_fma_f32 v15, 0x3f3bfb3b, v9, -v15
	v_fma_f32 v9, 0xbf3bfb3b, v9, -v23
	v_fma_f32 v17, 0xbf5ff5aa, v12, -v17
	v_add_f32_e32 v14, v14, v24
	v_fmac_f32_e32 v22, 0x3eae86e6, v18
	v_fma_f32 v18, 0xbf5ff5aa, v13, -v20
	v_dual_mul_f32 v20, 0x3f5ff5aa, v13 :: v_dual_add_f32 v15, v15, v26
	s_delay_alu instid0(VALU_DEP_3) | instskip(NEXT) | instid1(VALU_DEP_3)
	v_dual_add_f32 v23, v9, v26 :: v_dual_fmac_f32 v22, 0xbee1c552, v16
	v_fmac_f32_e32 v18, 0xbee1c552, v19
	s_delay_alu instid0(VALU_DEP_3) | instskip(SKIP_1) | instid1(VALU_DEP_4)
	v_dual_fmac_f32 v20, 0x3eae86e6, v21 :: v_dual_add_f32 v21, v8, v24
	v_fmac_f32_e32 v17, 0xbee1c552, v16
	v_sub_f32_e32 v9, v23, v22
	s_delay_alu instid0(VALU_DEP_4) | instskip(NEXT) | instid1(VALU_DEP_4)
	v_sub_f32_e32 v12, v14, v18
	v_fmac_f32_e32 v20, 0xbee1c552, v19
	s_delay_alu instid0(VALU_DEP_4) | instskip(SKIP_2) | instid1(VALU_DEP_4)
	v_dual_sub_f32 v16, v2, v158 :: v_dual_add_f32 v13, v17, v15
	v_sub_f32_e32 v19, v3, v159
	v_fmamk_f32 v24, v167, 0xbf955555, v11
	v_add_f32_e32 v8, v20, v21
	ds_store_2addr_b64 v30, v[8:9], v[12:13] offset0:2 offset1:3
	v_dual_add_f32 v8, v18, v14 :: v_dual_sub_f32 v9, v15, v17
	v_dual_sub_f32 v12, v21, v20 :: v_dual_add_f32 v13, v22, v23
	v_dual_sub_f32 v15, v158, v6 :: v_dual_sub_f32 v18, v159, v7
	v_dual_add_f32 v14, v158, v6 :: v_dual_add_f32 v17, v159, v7
	ds_store_2addr_b64 v30, v[8:9], v[12:13] offset0:4 offset1:5
	v_sub_f32_e32 v8, v25, v28
	scratch_load_b32 v28, off, off offset:236 th:TH_LOAD_LU ; 4-byte Folded Reload
	v_dual_add_f32 v9, v29, v27 :: v_dual_sub_f32 v12, v156, v4
	v_sub_f32_e32 v13, v157, v5
	v_dual_mul_f32 v15, 0x3f08b237, v15 :: v_dual_mul_f32 v18, 0x3f08b237, v18
	ds_store_b64 v30, v[8:9] offset:48
	v_dual_sub_f32 v8, v0, v156 :: v_dual_sub_f32 v9, v1, v157
	v_fmamk_f32 v22, v166, 0xbf955555, v10
	v_dual_add_f32 v14, v14, v2 :: v_dual_add_f32 v17, v17, v3
	s_delay_alu instid0(VALU_DEP_3) | instskip(SKIP_2) | instid1(VALU_DEP_3)
	v_dual_mul_f32 v20, 0x3f4a47b2, v8 :: v_dual_mul_f32 v21, 0x3f4a47b2, v9
	v_dual_fmamk_f32 v26, v19, 0xbeae86e6, v18 :: v_dual_fmamk_f32 v27, v16, 0xbeae86e6, v15
	v_sub_f32_e32 v2, v6, v2
	v_dual_fmamk_f32 v8, v12, 0x3d64c772, v20 :: v_dual_sub_f32 v3, v7, v3
	s_delay_alu instid0(VALU_DEP_3) | instskip(SKIP_1) | instid1(VALU_DEP_3)
	v_dual_fmac_f32 v26, 0xbee1c552, v17 :: v_dual_fmac_f32 v27, 0xbee1c552, v14
	v_sub_f32_e32 v0, v4, v0
	v_dual_add_f32 v23, v8, v22 :: v_dual_fmamk_f32 v8, v13, 0x3d64c772, v21
	v_dual_sub_f32 v1, v5, v1 :: v_dual_mul_f32 v4, 0x3d64c772, v12
	v_mul_f32_e32 v5, 0x3d64c772, v13
	v_mul_f32_e32 v7, 0x3f5ff5aa, v2
	s_delay_alu instid0(VALU_DEP_4) | instskip(NEXT) | instid1(VALU_DEP_4)
	v_dual_add_f32 v25, v8, v24 :: v_dual_add_f32 v8, v23, v26
	v_fma_f32 v4, 0x3f3bfb3b, v0, -v4
	v_fma_f32 v0, 0xbf3bfb3b, v0, -v20
	;; [unrolled: 1-line block ×3, first 2 shown]
	s_delay_alu instid0(VALU_DEP_4) | instskip(SKIP_3) | instid1(VALU_DEP_2)
	v_sub_f32_e32 v9, v25, v27
	v_fma_f32 v1, 0xbf3bfb3b, v1, -v21
	v_fma_f32 v6, 0xbf5ff5aa, v2, -v15
	v_dual_fmac_f32 v7, 0x3eae86e6, v16 :: v_dual_add_f32 v4, v4, v22
	v_dual_add_f32 v5, v5, v24 :: v_dual_fmac_f32 v6, 0xbee1c552, v14
	s_delay_alu instid0(VALU_DEP_2)
	v_fmac_f32_e32 v7, 0xbee1c552, v14
	s_wait_loadcnt 0x0
	ds_store_2addr_b64 v28, v[10:11], v[8:9] offset1:1
	v_mul_f32_e32 v9, 0x3f5ff5aa, v3
	v_fma_f32 v8, 0xbf5ff5aa, v3, -v18
	v_dual_add_f32 v10, v0, v22 :: v_dual_add_f32 v11, v1, v24
	v_add_f32_e32 v3, v6, v5
	s_delay_alu instid0(VALU_DEP_4) | instskip(NEXT) | instid1(VALU_DEP_3)
	v_fmac_f32_e32 v9, 0x3eae86e6, v19
	v_dual_fmac_f32 v8, 0xbee1c552, v17 :: v_dual_sub_f32 v1, v11, v7
	s_delay_alu instid0(VALU_DEP_1) | instskip(NEXT) | instid1(VALU_DEP_1)
	v_dual_fmac_f32 v9, 0xbee1c552, v17 :: v_dual_sub_f32 v2, v4, v8
	v_add_f32_e32 v0, v9, v10
	ds_store_2addr_b64 v28, v[0:1], v[2:3] offset0:2 offset1:3
	v_dual_add_f32 v0, v8, v4 :: v_dual_sub_f32 v1, v5, v6
	v_dual_sub_f32 v2, v10, v9 :: v_dual_add_f32 v3, v7, v11
	ds_store_2addr_b64 v28, v[0:1], v[2:3] offset0:4 offset1:5
	v_sub_f32_e32 v0, v23, v26
	v_add_f32_e32 v1, v27, v25
	ds_store_b64 v28, v[0:1] offset:48
	global_wb scope:SCOPE_SE
	s_wait_dscnt 0x0
	s_barrier_signal -1
	s_barrier_wait -1
	global_inv scope:SCOPE_SE
	scratch_load_b64 v[4:5], off, off offset:260 th:TH_LOAD_LU ; 8-byte Folded Reload
	ds_load_2addr_b64 v[0:3], v198 offset0:24 offset1:220
	s_wait_loadcnt_dscnt 0x0
	v_mul_f32_e32 v20, v5, v1
	s_delay_alu instid0(VALU_DEP_1) | instskip(SKIP_1) | instid1(VALU_DEP_1)
	v_fmac_f32_e32 v20, v4, v0
	v_mul_f32_e32 v0, v5, v0
	v_fma_f32 v21, v4, v1, -v0
	scratch_load_b64 v[4:5], off, off offset:252 th:TH_LOAD_LU ; 8-byte Folded Reload
	s_wait_loadcnt 0x0
	v_mul_f32_e32 v22, v5, v3
	v_mul_f32_e32 v0, v5, v2
	s_delay_alu instid0(VALU_DEP_2) | instskip(NEXT) | instid1(VALU_DEP_2)
	v_fmac_f32_e32 v22, v4, v2
	v_fma_f32 v23, v4, v3, -v0
	scratch_load_b64 v[4:5], off, off offset:276 th:TH_LOAD_LU ; 8-byte Folded Reload
	ds_load_2addr_b64 v[0:3], v197 offset0:32 offset1:228
	s_wait_loadcnt_dscnt 0x0
	v_mul_f32_e32 v24, v5, v1
	s_delay_alu instid0(VALU_DEP_1) | instskip(SKIP_1) | instid1(VALU_DEP_1)
	v_fmac_f32_e32 v24, v4, v0
	v_mul_f32_e32 v0, v5, v0
	v_fma_f32 v25, v4, v1, -v0
	scratch_load_b64 v[4:5], off, off offset:268 th:TH_LOAD_LU ; 8-byte Folded Reload
	s_wait_loadcnt 0x0
	v_mul_f32_e32 v26, v5, v3
	v_mul_f32_e32 v0, v5, v2
	s_delay_alu instid0(VALU_DEP_2) | instskip(NEXT) | instid1(VALU_DEP_2)
	v_fmac_f32_e32 v26, v4, v2
	v_fma_f32 v27, v4, v3, -v0
	scratch_load_b64 v[4:5], off, off offset:292 th:TH_LOAD_LU ; 8-byte Folded Reload
	ds_load_2addr_b64 v[0:3], v196 offset0:40 offset1:236
	s_wait_loadcnt_dscnt 0x0
	v_mul_f32_e32 v28, v5, v1
	s_delay_alu instid0(VALU_DEP_1) | instskip(SKIP_1) | instid1(VALU_DEP_1)
	v_fmac_f32_e32 v28, v4, v0
	v_mul_f32_e32 v0, v5, v0
	v_fma_f32 v29, v4, v1, -v0
	scratch_load_b64 v[4:5], off, off offset:300 th:TH_LOAD_LU ; 8-byte Folded Reload
	s_wait_loadcnt 0x0
	v_mul_f32_e32 v30, v5, v3
	v_mul_f32_e32 v0, v5, v2
	scratch_load_b64 v[5:6], off, off offset:284 th:TH_LOAD_LU ; 8-byte Folded Reload
	v_fmac_f32_e32 v30, v4, v2
	v_fma_f32 v31, v4, v3, -v0
	ds_load_2addr_b64 v[0:3], v202 offset0:16 offset1:212
	s_wait_dscnt 0x0
	v_mul_f32_e32 v32, v208, v1
	s_delay_alu instid0(VALU_DEP_1) | instskip(SKIP_1) | instid1(VALU_DEP_1)
	v_fmac_f32_e32 v32, v207, v0
	v_mul_f32_e32 v0, v208, v0
	v_fma_f32 v33, v207, v1, -v0
	s_wait_loadcnt 0x0
	v_mul_f32_e32 v4, v6, v3
	s_delay_alu instid0(VALU_DEP_1) | instskip(SKIP_1) | instid1(VALU_DEP_1)
	v_fmac_f32_e32 v4, v5, v2
	v_mul_f32_e32 v2, v6, v2
	v_fma_f32 v5, v5, v3, -v2
	ds_load_2addr_b64 v[0:3], v204 offset0:48 offset1:244
	s_wait_dscnt 0x0
	v_mul_f32_e32 v34, v206, v3
	v_mul_f32_e32 v36, v214, v1
	s_delay_alu instid0(VALU_DEP_2) | instskip(SKIP_1) | instid1(VALU_DEP_3)
	v_fmac_f32_e32 v34, v205, v2
	v_mul_f32_e32 v2, v206, v2
	v_fmac_f32_e32 v36, v213, v0
	v_mul_f32_e32 v0, v214, v0
	s_delay_alu instid0(VALU_DEP_3) | instskip(NEXT) | instid1(VALU_DEP_2)
	v_fma_f32 v35, v205, v3, -v2
	v_fma_f32 v37, v213, v1, -v0
	ds_load_2addr_b64 v[0:3], v199 offset0:8 offset1:204
	s_wait_dscnt 0x0
	v_mul_f32_e32 v38, v216, v3
	v_mul_f32_e32 v40, v212, v1
	s_delay_alu instid0(VALU_DEP_2) | instskip(SKIP_1) | instid1(VALU_DEP_3)
	v_fmac_f32_e32 v38, v215, v2
	v_mul_f32_e32 v2, v216, v2
	v_fmac_f32_e32 v40, v211, v0
	v_mul_f32_e32 v0, v212, v0
	s_delay_alu instid0(VALU_DEP_3) | instskip(NEXT) | instid1(VALU_DEP_2)
	v_fma_f32 v39, v215, v3, -v2
	;; [unrolled: 12-line block ×3, first 2 shown]
	v_fma_f32 v149, v221, v1, -v0
	ds_load_2addr_b64 v[0:3], v203 offset1:196
	s_wait_dscnt 0x0
	v_mul_f32_e32 v150, v224, v3
	v_mul_f32_e32 v152, v237, v1
	s_delay_alu instid0(VALU_DEP_2) | instskip(SKIP_1) | instid1(VALU_DEP_3)
	v_fmac_f32_e32 v150, v223, v2
	v_mul_f32_e32 v2, v224, v2
	v_fmac_f32_e32 v152, v236, v0
	v_mul_f32_e32 v0, v237, v0
	s_delay_alu instid0(VALU_DEP_3) | instskip(NEXT) | instid1(VALU_DEP_2)
	v_fma_f32 v151, v223, v3, -v2
	v_fma_f32 v153, v236, v1, -v0
	ds_load_2addr_b64 v[0:3], v217 offset0:32 offset1:228
	s_wait_dscnt 0x0
	v_mul_f32_e32 v154, v235, v3
	v_mul_f32_e32 v156, v226, v1
	s_delay_alu instid0(VALU_DEP_2) | instskip(SKIP_1) | instid1(VALU_DEP_3)
	v_fmac_f32_e32 v154, v234, v2
	v_mul_f32_e32 v2, v235, v2
	v_fmac_f32_e32 v156, v225, v0
	v_mul_f32_e32 v0, v226, v0
	s_delay_alu instid0(VALU_DEP_3) | instskip(NEXT) | instid1(VALU_DEP_2)
	v_fma_f32 v155, v234, v3, -v2
	v_fma_f32 v157, v225, v1, -v0
	ds_load_2addr_b64 v[0:3], v200 offset0:56 offset1:252
	;; [unrolled: 12-line block ×3, first 2 shown]
	s_wait_dscnt 0x0
	v_mul_f32_e32 v8, v252, v3
	s_delay_alu instid0(VALU_DEP_1) | instskip(SKIP_1) | instid1(VALU_DEP_2)
	v_fmac_f32_e32 v8, v251, v2
	v_mul_f32_e32 v2, v252, v2
	v_sub_f32_e32 v10, v8, v4
	s_delay_alu instid0(VALU_DEP_2) | instskip(NEXT) | instid1(VALU_DEP_2)
	v_fma_f32 v9, v251, v3, -v2
	v_fma_f32 v8, v8, 2.0, -v10
	s_delay_alu instid0(VALU_DEP_2) | instskip(SKIP_4) | instid1(VALU_DEP_1)
	v_sub_f32_e32 v11, v9, v5
	ds_load_2addr_b64 v[2:5], v233 offset1:196
	v_fma_f32 v9, v9, 2.0, -v11
	s_wait_dscnt 0x0
	v_dual_sub_f32 v6, v2, v6 :: v_dual_sub_f32 v7, v3, v7
	v_fma_f32 v12, v2, 2.0, -v6
	s_delay_alu instid0(VALU_DEP_2) | instskip(SKIP_1) | instid1(VALU_DEP_2)
	v_fma_f32 v13, v3, 2.0, -v7
	v_dual_add_f32 v14, v6, v11 :: v_dual_sub_f32 v15, v7, v10
	v_dual_sub_f32 v2, v12, v8 :: v_dual_sub_f32 v3, v13, v9
	s_delay_alu instid0(VALU_DEP_2) | instskip(NEXT) | instid1(VALU_DEP_3)
	v_fma_f32 v18, v6, 2.0, -v14
	v_fma_f32 v19, v7, 2.0, -v15
	s_delay_alu instid0(VALU_DEP_3) | instskip(NEXT) | instid1(VALU_DEP_4)
	v_fma_f32 v16, v12, 2.0, -v2
	v_fma_f32 v17, v13, 2.0, -v3
	ds_load_2addr_b64 v[6:9], v243 offset0:8 offset1:204
	ds_load_2addr_b64 v[10:13], v246 offset0:16 offset1:212
	global_wb scope:SCOPE_SE
	s_wait_dscnt 0x0
	s_barrier_signal -1
	s_barrier_wait -1
	global_inv scope:SCOPE_SE
	scratch_load_b32 v160, off, off offset:312 th:TH_LOAD_LU ; 4-byte Folded Reload
	s_wait_loadcnt 0x0
	ds_store_2addr_b64 v160, v[16:17], v[18:19] offset1:7
	ds_store_2addr_b64 v160, v[2:3], v[14:15] offset0:14 offset1:21
	scratch_load_b32 v18, off, off offset:308 th:TH_LOAD_LU ; 4-byte Folded Reload
	v_dual_sub_f32 v16, v4, v158 :: v_dual_sub_f32 v17, v5, v159
	s_delay_alu instid0(VALU_DEP_1) | instskip(NEXT) | instid1(VALU_DEP_2)
	v_fma_f32 v14, v4, 2.0, -v16
	v_fma_f32 v15, v5, 2.0, -v17
	v_dual_sub_f32 v5, v156, v20 :: v_dual_sub_f32 v4, v157, v21
	s_delay_alu instid0(VALU_DEP_1) | instskip(NEXT) | instid1(VALU_DEP_2)
	v_fma_f32 v2, v156, 2.0, -v5
	v_fma_f32 v3, v157, 2.0, -v4
	v_dual_add_f32 v4, v16, v4 :: v_dual_sub_f32 v5, v17, v5
	s_delay_alu instid0(VALU_DEP_2) | instskip(NEXT) | instid1(VALU_DEP_2)
	v_dual_sub_f32 v2, v14, v2 :: v_dual_sub_f32 v3, v15, v3
	v_fma_f32 v16, v16, 2.0, -v4
	s_delay_alu instid0(VALU_DEP_3) | instskip(NEXT) | instid1(VALU_DEP_3)
	v_fma_f32 v17, v17, 2.0, -v5
	v_fma_f32 v14, v14, 2.0, -v2
	s_delay_alu instid0(VALU_DEP_4)
	v_fma_f32 v15, v15, 2.0, -v3
	s_wait_loadcnt 0x0
	ds_store_2addr_b64 v18, v[14:15], v[16:17] offset1:7
	ds_store_2addr_b64 v18, v[2:3], v[4:5] offset0:14 offset1:21
	scratch_load_b32 v16, off, off offset:332 th:TH_LOAD_LU ; 4-byte Folded Reload
	v_dual_sub_f32 v5, v154, v22 :: v_dual_sub_f32 v4, v155, v23
	v_dual_sub_f32 v14, v6, v152 :: v_dual_sub_f32 v15, v7, v153
	s_delay_alu instid0(VALU_DEP_2) | instskip(NEXT) | instid1(VALU_DEP_3)
	v_fma_f32 v2, v154, 2.0, -v5
	v_fma_f32 v3, v155, 2.0, -v4
	s_delay_alu instid0(VALU_DEP_3) | instskip(NEXT) | instid1(VALU_DEP_4)
	v_fma_f32 v6, v6, 2.0, -v14
	v_fma_f32 v7, v7, 2.0, -v15
	v_dual_add_f32 v4, v14, v4 :: v_dual_sub_f32 v5, v15, v5
	s_delay_alu instid0(VALU_DEP_2) | instskip(NEXT) | instid1(VALU_DEP_2)
	v_dual_sub_f32 v2, v6, v2 :: v_dual_sub_f32 v3, v7, v3
	v_fma_f32 v14, v14, 2.0, -v4
	s_delay_alu instid0(VALU_DEP_3) | instskip(NEXT) | instid1(VALU_DEP_3)
	v_fma_f32 v15, v15, 2.0, -v5
	v_fma_f32 v6, v6, 2.0, -v2
	s_delay_alu instid0(VALU_DEP_4)
	v_fma_f32 v7, v7, 2.0, -v3
	s_wait_loadcnt 0x0
	ds_store_2addr_b64 v16, v[6:7], v[14:15] offset1:7
	ds_store_2addr_b64 v16, v[2:3], v[4:5] offset0:14 offset1:21
	v_sub_f32_e32 v14, v8, v150
	v_sub_f32_e32 v4, v149, v25
	;; [unrolled: 1-line block ×4, first 2 shown]
	s_delay_alu instid0(VALU_DEP_4) | instskip(NEXT) | instid1(VALU_DEP_4)
	v_fma_f32 v6, v8, 2.0, -v14
	v_fma_f32 v3, v149, 2.0, -v4
	v_add_f32_e32 v4, v14, v4
	v_fma_f32 v7, v9, 2.0, -v15
	v_fma_f32 v2, v148, 2.0, -v5
	v_sub_f32_e32 v5, v15, v5
	s_delay_alu instid0(VALU_DEP_4) | instskip(SKIP_3) | instid1(VALU_DEP_2)
	v_fma_f32 v8, v14, 2.0, -v4
	scratch_load_b32 v14, off, off offset:328 th:TH_LOAD_LU ; 4-byte Folded Reload
	v_dual_sub_f32 v2, v6, v2 :: v_dual_sub_f32 v3, v7, v3
	v_fma_f32 v9, v15, 2.0, -v5
	v_fma_f32 v6, v6, 2.0, -v2
	s_delay_alu instid0(VALU_DEP_3)
	v_fma_f32 v7, v7, 2.0, -v3
	s_wait_loadcnt 0x0
	ds_store_2addr_b64 v14, v[6:7], v[8:9] offset1:7
	ds_store_2addr_b64 v14, v[2:3], v[4:5] offset0:14 offset1:21
	v_sub_f32_e32 v8, v10, v40
	v_dual_sub_f32 v5, v42, v26 :: v_dual_sub_f32 v4, v43, v27
	v_sub_f32_e32 v9, v11, v41
	s_delay_alu instid0(VALU_DEP_3)
	v_fma_f32 v6, v10, 2.0, -v8
	scratch_load_b32 v10, off, off offset:324 th:TH_LOAD_LU ; 4-byte Folded Reload
	v_fma_f32 v2, v42, 2.0, -v5
	v_fma_f32 v3, v43, 2.0, -v4
	;; [unrolled: 1-line block ×3, first 2 shown]
	v_dual_add_f32 v4, v8, v4 :: v_dual_sub_f32 v5, v9, v5
	s_delay_alu instid0(VALU_DEP_2) | instskip(NEXT) | instid1(VALU_DEP_2)
	v_dual_sub_f32 v2, v6, v2 :: v_dual_sub_f32 v3, v7, v3
	v_fma_f32 v8, v8, 2.0, -v4
	s_delay_alu instid0(VALU_DEP_3) | instskip(NEXT) | instid1(VALU_DEP_3)
	v_fma_f32 v9, v9, 2.0, -v5
	v_fma_f32 v6, v6, 2.0, -v2
	s_delay_alu instid0(VALU_DEP_4)
	v_fma_f32 v7, v7, 2.0, -v3
	s_wait_loadcnt 0x0
	ds_store_2addr_b64 v10, v[6:7], v[8:9] offset1:7
	ds_store_2addr_b64 v10, v[2:3], v[4:5] offset0:14 offset1:21
	scratch_load_b32 v10, off, off offset:320 th:TH_LOAD_LU ; 4-byte Folded Reload
	v_dual_sub_f32 v8, v12, v38 :: v_dual_sub_f32 v9, v13, v39
	v_dual_sub_f32 v5, v36, v28 :: v_dual_sub_f32 v4, v37, v29
	s_delay_alu instid0(VALU_DEP_2) | instskip(NEXT) | instid1(VALU_DEP_3)
	v_fma_f32 v6, v12, 2.0, -v8
	v_fma_f32 v7, v13, 2.0, -v9
	s_delay_alu instid0(VALU_DEP_3) | instskip(NEXT) | instid1(VALU_DEP_4)
	v_fma_f32 v2, v36, 2.0, -v5
	v_fma_f32 v3, v37, 2.0, -v4
	v_dual_add_f32 v4, v8, v4 :: v_dual_sub_f32 v5, v9, v5
	s_delay_alu instid0(VALU_DEP_2) | instskip(NEXT) | instid1(VALU_DEP_2)
	v_dual_sub_f32 v2, v6, v2 :: v_dual_sub_f32 v3, v7, v3
	v_fma_f32 v8, v8, 2.0, -v4
	s_delay_alu instid0(VALU_DEP_3) | instskip(NEXT) | instid1(VALU_DEP_3)
	v_fma_f32 v9, v9, 2.0, -v5
	v_fma_f32 v6, v6, 2.0, -v2
	s_delay_alu instid0(VALU_DEP_4)
	v_fma_f32 v7, v7, 2.0, -v3
	s_wait_loadcnt 0x0
	ds_store_2addr_b64 v10, v[6:7], v[8:9] offset1:7
	ds_store_2addr_b64 v10, v[2:3], v[4:5] offset0:14 offset1:21
	scratch_load_b32 v8, off, off offset:316 th:TH_LOAD_LU ; 4-byte Folded Reload
	v_dual_sub_f32 v6, v0, v32 :: v_dual_sub_f32 v7, v1, v33
	v_dual_sub_f32 v3, v34, v30 :: v_dual_sub_f32 v2, v35, v31
	s_delay_alu instid0(VALU_DEP_2) | instskip(NEXT) | instid1(VALU_DEP_3)
	v_fma_f32 v4, v0, 2.0, -v6
	v_fma_f32 v5, v1, 2.0, -v7
	s_delay_alu instid0(VALU_DEP_3) | instskip(NEXT) | instid1(VALU_DEP_4)
	v_fma_f32 v0, v34, 2.0, -v3
	v_fma_f32 v1, v35, 2.0, -v2
	v_dual_add_f32 v2, v6, v2 :: v_dual_sub_f32 v3, v7, v3
	s_delay_alu instid0(VALU_DEP_2) | instskip(NEXT) | instid1(VALU_DEP_2)
	v_dual_sub_f32 v0, v4, v0 :: v_dual_sub_f32 v1, v5, v1
	v_fma_f32 v6, v6, 2.0, -v2
	s_delay_alu instid0(VALU_DEP_3) | instskip(NEXT) | instid1(VALU_DEP_3)
	v_fma_f32 v7, v7, 2.0, -v3
	v_fma_f32 v4, v4, 2.0, -v0
	s_delay_alu instid0(VALU_DEP_4)
	v_fma_f32 v5, v5, 2.0, -v1
	s_wait_loadcnt 0x0
	ds_store_2addr_b64 v8, v[4:5], v[6:7] offset1:7
	ds_store_2addr_b64 v8, v[0:1], v[2:3] offset0:14 offset1:21
	global_wb scope:SCOPE_SE
	s_wait_dscnt 0x0
	s_barrier_signal -1
	s_barrier_wait -1
	global_inv scope:SCOPE_SE
	ds_load_2addr_b64 v[0:3], v246 offset0:16 offset1:212
	ds_load_2addr_b64 v[4:7], v217 offset0:32 offset1:228
	;; [unrolled: 1-line block ×4, first 2 shown]
	s_wait_dscnt 0x3
	v_mul_f32_e32 v148, v177, v1
	s_wait_dscnt 0x2
	v_dual_mul_f32 v9, v73, v3 :: v_dual_mul_f32 v150, v179, v5
	v_mul_f32_e32 v11, v75, v7
	s_wait_dscnt 0x1
	v_mul_f32_e32 v13, v47, v16
	v_fmac_f32_e32 v148, v176, v0
	v_dual_mul_f32 v0, v177, v0 :: v_dual_fmac_f32 v9, v72, v2
	v_fmac_f32_e32 v150, v178, v4
	v_fmac_f32_e32 v11, v74, v6
	v_fmac_f32_e32 v13, v46, v15
	s_delay_alu instid0(VALU_DEP_4) | instskip(SKIP_4) | instid1(VALU_DEP_3)
	v_fma_f32 v149, v176, v1, -v0
	v_mul_f32_e32 v0, v179, v4
	s_wait_dscnt 0x0
	v_mul_f32_e32 v26, v51, v37
	v_mul_f32_e32 v8, v194, v38
	v_fma_f32 v151, v178, v5, -v0
	v_mul_f32_e32 v0, v73, v2
	s_delay_alu instid0(VALU_DEP_4) | instskip(NEXT) | instid1(VALU_DEP_4)
	v_fmac_f32_e32 v26, v50, v36
	v_fma_f32 v8, v193, v39, -v8
	s_delay_alu instid0(VALU_DEP_3) | instskip(SKIP_1) | instid1(VALU_DEP_1)
	v_fma_f32 v10, v72, v3, -v0
	v_mul_f32_e32 v0, v75, v6
	v_fma_f32 v14, v74, v7, -v0
	ds_load_2addr_b64 v[0:3], v204 offset0:48 offset1:244
	ds_load_2addr_b64 v[4:7], v203 offset1:196
	s_wait_dscnt 0x1
	v_mul_f32_e32 v72, v69, v1
	v_mul_f32_e32 v19, v65, v3
	s_wait_dscnt 0x0
	v_mul_f32_e32 v22, v67, v7
	s_delay_alu instid0(VALU_DEP_3) | instskip(SKIP_2) | instid1(VALU_DEP_4)
	v_fmac_f32_e32 v72, v68, v0
	v_dual_mul_f32 v0, v69, v0 :: v_dual_mul_f32 v69, v71, v5
	v_fmac_f32_e32 v19, v64, v2
	v_fmac_f32_e32 v22, v66, v6
	s_delay_alu instid0(VALU_DEP_3) | instskip(SKIP_2) | instid1(VALU_DEP_2)
	v_fma_f32 v68, v68, v1, -v0
	v_mul_f32_e32 v0, v71, v4
	v_fmac_f32_e32 v69, v70, v4
	v_fma_f32 v70, v70, v5, -v0
	v_mul_f32_e32 v0, v65, v2
	s_delay_alu instid0(VALU_DEP_1) | instskip(SKIP_1) | instid1(VALU_DEP_1)
	v_fma_f32 v20, v64, v3, -v0
	v_mul_f32_e32 v0, v67, v6
	v_fma_f32 v23, v66, v7, -v0
	ds_load_2addr_b64 v[0:3], v202 offset0:16 offset1:212
	ds_load_2addr_b64 v[4:7], v197 offset0:32 offset1:228
	s_wait_dscnt 0x1
	v_mul_f32_e32 v64, v61, v1
	v_mul_f32_e32 v27, v57, v3
	s_wait_dscnt 0x0
	v_mul_f32_e32 v30, v59, v7
	s_delay_alu instid0(VALU_DEP_3) | instskip(SKIP_2) | instid1(VALU_DEP_4)
	v_fmac_f32_e32 v64, v60, v0
	v_dual_mul_f32 v0, v61, v0 :: v_dual_mul_f32 v61, v63, v5
	v_fmac_f32_e32 v27, v56, v2
	v_fmac_f32_e32 v30, v58, v6
	s_delay_alu instid0(VALU_DEP_3) | instskip(SKIP_2) | instid1(VALU_DEP_2)
	v_fma_f32 v60, v60, v1, -v0
	v_mul_f32_e32 v0, v63, v4
	v_fmac_f32_e32 v61, v62, v4
	v_fma_f32 v62, v62, v5, -v0
	v_mul_f32_e32 v0, v57, v2
	s_delay_alu instid0(VALU_DEP_1) | instskip(SKIP_2) | instid1(VALU_DEP_3)
	v_fma_f32 v29, v56, v3, -v0
	v_mul_f32_e32 v0, v59, v6
	v_mul_f32_e32 v6, v194, v39
	v_add_f32_e32 v57, v14, v29
	s_delay_alu instid0(VALU_DEP_3)
	v_fma_f32 v31, v58, v7, -v0
	ds_load_2addr_b64 v[0:3], v231 offset0:24 offset1:220
	v_fmac_f32_e32 v6, v193, v38
	v_add_f32_e32 v58, v20, v23
	v_sub_f32_e32 v14, v14, v29
	v_add_f32_e32 v56, v10, v31
	v_dual_sub_f32 v31, v10, v31 :: v_dual_sub_f32 v10, v23, v20
	s_delay_alu instid0(VALU_DEP_4) | instskip(SKIP_2) | instid1(VALU_DEP_1)
	v_sub_f32_e32 v23, v58, v57
	s_wait_dscnt 0x0
	v_mul_f32_e32 v7, v45, v1
	v_fmac_f32_e32 v7, v44, v0
	v_mul_f32_e32 v0, v45, v0
	s_delay_alu instid0(VALU_DEP_1) | instskip(SKIP_3) | instid1(VALU_DEP_3)
	v_fma_f32 v12, v44, v1, -v0
	v_dual_mul_f32 v0, v47, v15 :: v_dual_mul_f32 v1, v173, v2
	v_dual_add_f32 v47, v150, v64 :: v_dual_add_f32 v44, v72, v69
	v_sub_f32_e32 v64, v150, v64
	v_fma_f32 v21, v46, v16, -v0
	v_mul_f32_e32 v0, v173, v3
	v_fma_f32 v1, v172, v3, -v1
	v_mul_f32_e32 v3, v175, v17
	v_dual_add_f32 v46, v148, v61 :: v_dual_sub_f32 v69, v69, v72
	s_delay_alu instid0(VALU_DEP_4) | instskip(SKIP_1) | instid1(VALU_DEP_4)
	v_fmac_f32_e32 v0, v172, v2
	v_mul_f32_e32 v2, v175, v18
	v_fma_f32 v3, v174, v18, -v3
	v_sub_f32_e32 v61, v148, v61
	v_sub_f32_e32 v72, v44, v47
	v_add_f32_e32 v148, v69, v64
	v_fmac_f32_e32 v2, v174, v17
	ds_load_2addr_b64 v[15:18], v200 offset0:56 offset1:252
	v_add_f32_e32 v148, v148, v61
	s_wait_dscnt 0x0
	v_mul_f32_e32 v4, v49, v15
	v_dual_mul_f32 v24, v49, v16 :: v_dual_mul_f32 v5, v192, v17
	v_add_f32_e32 v49, v151, v60
	v_sub_f32_e32 v60, v151, v60
	s_delay_alu instid0(VALU_DEP_4)
	v_fma_f32 v25, v48, v16, -v4
	v_mul_f32_e32 v4, v51, v36
	v_fmac_f32_e32 v24, v48, v15
	v_fma_f32 v5, v191, v18, -v5
	v_add_f32_e32 v48, v149, v62
	v_sub_f32_e32 v62, v149, v62
	v_fma_f32 v28, v50, v37, -v4
	v_mul_f32_e32 v4, v192, v18
	ds_load_2addr_b64 v[35:38], v196 offset0:40 offset1:236
	v_add_f32_e32 v50, v68, v70
	v_add_f32_e32 v66, v24, v26
	;; [unrolled: 1-line block ×3, first 2 shown]
	v_fmac_f32_e32 v4, v191, v17
	ds_load_2addr_b64 v[15:18], v198 offset0:24 offset1:220
	v_add_f32_e32 v158, v5, v8
	v_sub_f32_e32 v68, v70, v68
	v_sub_f32_e32 v70, v46, v44
	v_dual_add_f32 v154, v4, v6 :: v_dual_sub_f32 v149, v69, v64
	v_sub_f32_e32 v69, v61, v69
	s_delay_alu instid0(VALU_DEP_3) | instskip(SKIP_1) | instid1(VALU_DEP_4)
	v_dual_sub_f32 v151, v68, v60 :: v_dual_mul_f32 v70, 0x3f4a47b2, v70
	v_add_f32_e32 v150, v68, v60
	v_dual_sub_f32 v68, v62, v68 :: v_dual_mul_f32 v149, 0x3f08b237, v149
	s_delay_alu instid0(VALU_DEP_2) | instskip(SKIP_1) | instid1(VALU_DEP_2)
	v_dual_mul_f32 v151, 0x3f08b237, v151 :: v_dual_add_f32 v150, v150, v62
	s_wait_dscnt 0x1
	v_dual_mul_f32 v34, v171, v36 :: v_dual_fmamk_f32 v165, v69, 0xbeae86e6, v149
	s_delay_alu instid0(VALU_DEP_2) | instskip(SKIP_2) | instid1(VALU_DEP_3)
	v_fmamk_f32 v164, v68, 0xbeae86e6, v151
	s_wait_dscnt 0x0
	v_mul_f32_e32 v32, v169, v16
	v_fmac_f32_e32 v34, v170, v35
	s_delay_alu instid0(VALU_DEP_3) | instskip(NEXT) | instid1(VALU_DEP_3)
	v_dual_fmac_f32 v164, 0xbee1c552, v150 :: v_dual_fmac_f32 v165, 0xbee1c552, v148
	v_fmac_f32_e32 v32, v168, v15
	v_mul_f32_e32 v15, v169, v15
	s_delay_alu instid0(VALU_DEP_4) | instskip(SKIP_1) | instid1(VALU_DEP_4)
	v_add_f32_e32 v63, v7, v34
	v_sub_f32_e32 v7, v7, v34
	v_add_f32_e32 v65, v13, v32
	s_delay_alu instid0(VALU_DEP_4) | instskip(SKIP_1) | instid1(VALU_DEP_2)
	v_fma_f32 v33, v168, v16, -v15
	v_dual_mul_f32 v15, v171, v35 :: v_dual_mul_f32 v16, v53, v17
	v_add_f32_e32 v73, v21, v33
	s_delay_alu instid0(VALU_DEP_2)
	v_fma_f32 v35, v170, v36, -v15
	v_mul_f32_e32 v15, v53, v18
	v_add_f32_e32 v36, v47, v46
	v_fma_f32 v16, v52, v18, -v16
	v_mul_f32_e32 v18, v55, v37
	v_add_f32_e32 v53, v11, v27
	v_fmac_f32_e32 v15, v52, v17
	v_mul_f32_e32 v17, v55, v38
	v_add_f32_e32 v45, v44, v36
	v_add_f32_e32 v36, v49, v48
	;; [unrolled: 1-line block ×3, first 2 shown]
	v_fma_f32 v18, v54, v38, -v18
	v_dual_fmac_f32 v17, v54, v37 :: v_dual_add_f32 v54, v19, v22
	s_delay_alu instid0(VALU_DEP_4) | instskip(NEXT) | instid1(VALU_DEP_4)
	v_add_f32_e32 v51, v50, v36
	v_dual_add_f32 v36, v53, v52 :: v_dual_add_f32 v71, v12, v35
	s_delay_alu instid0(VALU_DEP_3) | instskip(NEXT) | instid1(VALU_DEP_2)
	v_dual_add_f32 v152, v0, v17 :: v_dual_add_f32 v153, v2, v15
	v_dual_add_f32 v156, v1, v18 :: v_dual_add_f32 v55, v54, v36
	v_add_f32_e32 v36, v57, v56
	v_dual_add_f32 v157, v3, v16 :: v_dual_sub_f32 v30, v9, v30
	v_sub_f32_e32 v9, v22, v19
	v_sub_f32_e32 v19, v52, v54
	s_delay_alu instid0(VALU_DEP_4)
	v_add_f32_e32 v59, v58, v36
	ds_load_2addr_b64 v[36:39], v233 offset1:196
	v_sub_f32_e32 v20, v54, v53
	v_sub_f32_e32 v44, v48, v50
	v_dual_sub_f32 v50, v50, v49 :: v_dual_sub_f32 v11, v11, v27
	v_dual_sub_f32 v22, v56, v58 :: v_dual_mul_f32 v19, 0x3f4a47b2, v19
	s_delay_alu instid0(VALU_DEP_3) | instskip(NEXT) | instid1(VALU_DEP_3)
	v_mul_f32_e32 v160, 0x3f4a47b2, v44
	v_dual_fmamk_f32 v44, v72, 0x3d64c772, v70 :: v_dual_add_f32 v27, v9, v11
	s_delay_alu instid0(VALU_DEP_3) | instskip(SKIP_1) | instid1(VALU_DEP_3)
	v_dual_sub_f32 v29, v9, v11 :: v_dual_mul_f32 v22, 0x3f4a47b2, v22
	v_dual_sub_f32 v11, v11, v30 :: v_dual_sub_f32 v2, v2, v15
	v_add_f32_e32 v27, v27, v30
	s_delay_alu instid0(VALU_DEP_3)
	v_mul_f32_e32 v29, 0x3f08b237, v29
	s_wait_dscnt 0x0
	v_dual_sub_f32 v3, v3, v16 :: v_dual_add_f32 v40, v36, v45
	v_add_f32_e32 v36, v65, v63
	v_add_f32_e32 v41, v37, v51
	;; [unrolled: 1-line block ×4, first 2 shown]
	v_fmamk_f32 v161, v45, 0xbf955555, v40
	v_dual_add_f32 v67, v66, v36 :: v_dual_add_f32 v36, v73, v71
	s_delay_alu instid0(VALU_DEP_2) | instskip(SKIP_1) | instid1(VALU_DEP_3)
	v_dual_fmamk_f32 v51, v51, 0xbf955555, v41 :: v_dual_add_f32 v162, v44, v161
	v_fmamk_f32 v44, v50, 0x3d64c772, v160
	v_add_f32_e32 v75, v74, v36
	s_delay_alu instid0(VALU_DEP_2) | instskip(NEXT) | instid1(VALU_DEP_1)
	v_dual_add_f32 v36, v153, v152 :: v_dual_add_f32 v163, v44, v51
	v_dual_add_f32 v44, v164, v162 :: v_dual_add_f32 v155, v154, v36
	s_delay_alu instid0(VALU_DEP_2) | instskip(NEXT) | instid1(VALU_DEP_1)
	v_dual_add_f32 v36, v157, v156 :: v_dual_sub_f32 v45, v163, v165
	v_add_f32_e32 v159, v158, v36
	ds_load_2addr_b64 v[36:39], v243 offset0:8 offset1:204
	global_wb scope:SCOPE_SE
	s_wait_dscnt 0x0
	s_barrier_signal -1
	s_barrier_wait -1
	global_inv scope:SCOPE_SE
	s_clause 0x2
	scratch_load_b32 v166, off, off offset:336 th:TH_LOAD_LU
	scratch_load_b32 v54, off, off offset:340 th:TH_LOAD_LU
	;; [unrolled: 1-line block ×3, first 2 shown]
	v_add_f32_e32 v36, v36, v67
	v_add_f32_e32 v37, v37, v75
	;; [unrolled: 1-line block ×4, first 2 shown]
	s_delay_alu instid0(VALU_DEP_2)
	v_fmamk_f32 v16, v155, 0xbf955555, v38
	s_wait_loadcnt 0x2
	ds_store_2addr_b64 v166, v[40:41], v[44:45] offset1:28
	v_sub_f32_e32 v44, v64, v61
	v_sub_f32_e32 v45, v60, v62
	v_dual_sub_f32 v40, v47, v46 :: v_dual_sub_f32 v41, v49, v48
	v_dual_mul_f32 v46, 0x3d64c772, v72 :: v_dual_mul_f32 v47, 0x3d64c772, v50
	s_delay_alu instid0(VALU_DEP_3) | instskip(SKIP_1) | instid1(VALU_DEP_3)
	v_dual_mul_f32 v49, 0x3f5ff5aa, v44 :: v_dual_mul_f32 v60, 0x3f5ff5aa, v45
	v_fma_f32 v48, 0xbf5ff5aa, v44, -v149
	v_fma_f32 v46, 0x3f3bfb3b, v40, -v46
	;; [unrolled: 1-line block ×5, first 2 shown]
	v_fmac_f32_e32 v49, 0x3eae86e6, v69
	v_fma_f32 v50, 0xbf5ff5aa, v45, -v151
	v_fmac_f32_e32 v60, 0x3eae86e6, v68
	v_add_f32_e32 v46, v46, v161
	v_add_f32_e32 v61, v40, v161
	;; [unrolled: 1-line block ×3, first 2 shown]
	s_delay_alu instid0(VALU_DEP_4) | instskip(SKIP_2) | instid1(VALU_DEP_3)
	v_dual_add_f32 v51, v41, v51 :: v_dual_fmac_f32 v60, 0xbee1c552, v150
	v_dual_fmac_f32 v50, 0xbee1c552, v150 :: v_dual_fmac_f32 v49, 0xbee1c552, v148
	v_fmac_f32_e32 v48, 0xbee1c552, v148
	v_add_f32_e32 v40, v60, v61
	s_delay_alu instid0(VALU_DEP_3) | instskip(NEXT) | instid1(VALU_DEP_3)
	v_dual_sub_f32 v44, v46, v50 :: v_dual_sub_f32 v41, v51, v49
	v_add_f32_e32 v45, v48, v47
	ds_store_2addr_b64 v166, v[40:41], v[44:45] offset0:56 offset1:84
	v_dual_add_f32 v40, v50, v46 :: v_dual_sub_f32 v41, v47, v48
	v_sub_f32_e32 v44, v61, v60
	v_dual_add_f32 v45, v49, v51 :: v_dual_fmamk_f32 v46, v55, 0xbf955555, v42
	v_fmamk_f32 v47, v59, 0xbf955555, v43
	ds_store_2addr_b64 v166, v[40:41], v[44:45] offset0:112 offset1:140
	v_dual_sub_f32 v40, v162, v164 :: v_dual_add_f32 v41, v165, v163
	v_sub_f32_e32 v44, v31, v10
	ds_store_b64 v166, v[40:41] offset:1344
	v_sub_f32_e32 v40, v30, v9
	v_add_f32_e32 v9, v10, v14
	v_sub_f32_e32 v41, v10, v14
	s_delay_alu instid0(VALU_DEP_3) | instskip(NEXT) | instid1(VALU_DEP_3)
	v_dual_sub_f32 v14, v14, v31 :: v_dual_fmamk_f32 v51, v40, 0xbeae86e6, v29
	v_add_f32_e32 v45, v9, v31
	s_delay_alu instid0(VALU_DEP_3) | instskip(SKIP_1) | instid1(VALU_DEP_4)
	v_mul_f32_e32 v41, 0x3f08b237, v41
	v_dual_fmamk_f32 v9, v20, 0x3d64c772, v19 :: v_dual_mul_f32 v20, 0x3d64c772, v20
	v_fmac_f32_e32 v51, 0xbee1c552, v27
	s_delay_alu instid0(VALU_DEP_3) | instskip(NEXT) | instid1(VALU_DEP_3)
	v_fmamk_f32 v50, v44, 0xbeae86e6, v41
	v_dual_add_f32 v48, v9, v46 :: v_dual_fmamk_f32 v9, v23, 0x3d64c772, v22
	s_delay_alu instid0(VALU_DEP_1) | instskip(NEXT) | instid1(VALU_DEP_1)
	v_dual_fmac_f32 v50, 0xbee1c552, v45 :: v_dual_add_f32 v49, v9, v47
	v_dual_add_f32 v9, v50, v48 :: v_dual_sub_f32 v10, v49, v51
	s_wait_loadcnt 0x1
	ds_store_2addr_b64 v54, v[42:43], v[9:10] offset1:28
	v_sub_f32_e32 v9, v53, v52
	v_sub_f32_e32 v10, v57, v56
	s_delay_alu instid0(VALU_DEP_2) | instskip(SKIP_4) | instid1(VALU_DEP_4)
	v_fma_f32 v20, 0x3f3bfb3b, v9, -v20
	v_fma_f32 v9, 0xbf3bfb3b, v9, -v19
	v_mul_f32_e32 v19, 0x3d64c772, v23
	v_fma_f32 v23, 0xbf5ff5aa, v14, -v41
	v_mul_f32_e32 v14, 0x3f5ff5aa, v14
	v_add_f32_e32 v30, v9, v46
	s_delay_alu instid0(VALU_DEP_4)
	v_fma_f32 v19, 0x3f3bfb3b, v10, -v19
	v_fma_f32 v10, 0xbf3bfb3b, v10, -v22
	;; [unrolled: 1-line block ×3, first 2 shown]
	v_mul_f32_e32 v11, 0x3f5ff5aa, v11
	v_dual_fmac_f32 v14, 0x3eae86e6, v44 :: v_dual_add_f32 v29, v20, v46
	v_add_f32_e32 v31, v19, v47
	v_fmac_f32_e32 v23, 0xbee1c552, v45
	s_delay_alu instid0(VALU_DEP_4) | instskip(NEXT) | instid1(VALU_DEP_4)
	v_dual_fmac_f32 v11, 0x3eae86e6, v40 :: v_dual_add_f32 v40, v10, v47
	v_fmac_f32_e32 v14, 0xbee1c552, v45
	v_fmac_f32_e32 v22, 0xbee1c552, v27
	s_delay_alu instid0(VALU_DEP_4) | instskip(NEXT) | instid1(VALU_DEP_4)
	v_sub_f32_e32 v19, v29, v23
	v_fmac_f32_e32 v11, 0xbee1c552, v27
	s_delay_alu instid0(VALU_DEP_4) | instskip(NEXT) | instid1(VALU_DEP_4)
	v_add_f32_e32 v9, v14, v30
	v_add_f32_e32 v20, v22, v31
	s_delay_alu instid0(VALU_DEP_3)
	v_sub_f32_e32 v10, v40, v11
	ds_store_2addr_b64 v54, v[9:10], v[19:20] offset0:56 offset1:84
	v_add_f32_e32 v9, v23, v29
	v_sub_f32_e32 v10, v31, v22
	v_dual_sub_f32 v19, v30, v14 :: v_dual_add_f32 v20, v11, v40
	v_dual_sub_f32 v11, v12, v35 :: v_dual_sub_f32 v12, v13, v32
	v_dual_sub_f32 v13, v21, v33 :: v_dual_sub_f32 v14, v63, v66
	ds_store_2addr_b64 v54, v[9:10], v[19:20] offset0:112 offset1:140
	v_dual_sub_f32 v9, v48, v50 :: v_dual_add_f32 v10, v51, v49
	v_dual_sub_f32 v19, v66, v65 :: v_dual_sub_f32 v20, v71, v74
	v_dual_mul_f32 v14, 0x3f4a47b2, v14 :: v_dual_sub_f32 v21, v74, v73
	ds_store_b64 v54, v[9:10] offset:1344
	v_dual_sub_f32 v9, v26, v24 :: v_dual_sub_f32 v10, v28, v25
	v_mul_f32_e32 v20, 0x3f4a47b2, v20
	v_fmamk_f32 v28, v67, 0xbf955555, v36
	s_delay_alu instid0(VALU_DEP_3) | instskip(SKIP_3) | instid1(VALU_DEP_3)
	v_dual_fmamk_f32 v29, v75, 0xbf955555, v37 :: v_dual_add_f32 v22, v9, v12
	v_dual_sub_f32 v23, v9, v12 :: v_dual_sub_f32 v24, v7, v9
	v_add_f32_e32 v9, v10, v13
	v_dual_sub_f32 v25, v10, v13 :: v_dual_sub_f32 v26, v11, v10
	v_mul_f32_e32 v23, 0x3f08b237, v23
	v_add_f32_e32 v22, v22, v7
	s_delay_alu instid0(VALU_DEP_4) | instskip(NEXT) | instid1(VALU_DEP_4)
	v_add_f32_e32 v27, v9, v11
	v_mul_f32_e32 v25, 0x3f08b237, v25
	v_fmamk_f32 v9, v19, 0x3d64c772, v14
	v_fmamk_f32 v33, v24, 0xbeae86e6, v23
	v_sub_f32_e32 v7, v12, v7
	s_delay_alu instid0(VALU_DEP_4) | instskip(NEXT) | instid1(VALU_DEP_4)
	v_dual_sub_f32 v11, v13, v11 :: v_dual_fmamk_f32 v32, v26, 0xbeae86e6, v25
	v_add_f32_e32 v30, v9, v28
	v_fmamk_f32 v9, v21, 0x3d64c772, v20
	v_fmac_f32_e32 v33, 0xbee1c552, v22
	v_mul_f32_e32 v12, 0x3d64c772, v19
	v_fmac_f32_e32 v32, 0xbee1c552, v27
	v_mul_f32_e32 v13, 0x3d64c772, v21
	v_add_f32_e32 v31, v9, v29
	v_fma_f32 v19, 0xbf5ff5aa, v11, -v25
	s_delay_alu instid0(VALU_DEP_2) | instskip(NEXT) | instid1(VALU_DEP_2)
	v_dual_add_f32 v9, v32, v30 :: v_dual_sub_f32 v10, v31, v33
	v_fmac_f32_e32 v19, 0xbee1c552, v27
	s_wait_loadcnt 0x0
	ds_store_2addr_b64 v34, v[36:37], v[9:10] offset1:28
	v_sub_f32_e32 v9, v65, v63
	v_sub_f32_e32 v10, v73, v71
	s_delay_alu instid0(VALU_DEP_2) | instskip(SKIP_1) | instid1(VALU_DEP_3)
	v_fma_f32 v12, 0x3f3bfb3b, v9, -v12
	v_fma_f32 v9, 0xbf3bfb3b, v9, -v14
	;; [unrolled: 1-line block ×5, first 2 shown]
	v_mul_f32_e32 v7, 0x3f5ff5aa, v7
	v_dual_mul_f32 v20, 0x3f5ff5aa, v11 :: v_dual_add_f32 v21, v12, v28
	v_add_f32_e32 v23, v9, v28
	v_add_f32_e32 v13, v13, v29
	s_delay_alu instid0(VALU_DEP_3) | instskip(SKIP_2) | instid1(VALU_DEP_3)
	v_dual_fmac_f32 v7, 0x3eae86e6, v24 :: v_dual_fmac_f32 v20, 0x3eae86e6, v26
	v_add_f32_e32 v24, v10, v29
	v_dual_fmac_f32 v14, 0xbee1c552, v22 :: v_dual_sub_f32 v11, v21, v19
	v_dual_fmac_f32 v7, 0xbee1c552, v22 :: v_dual_fmac_f32 v20, 0xbee1c552, v27
	s_delay_alu instid0(VALU_DEP_2) | instskip(NEXT) | instid1(VALU_DEP_2)
	v_add_f32_e32 v12, v14, v13
	v_sub_f32_e32 v10, v24, v7
	s_delay_alu instid0(VALU_DEP_3)
	v_add_f32_e32 v9, v20, v23
	ds_store_2addr_b64 v34, v[9:10], v[11:12] offset0:56 offset1:84
	v_dual_add_f32 v9, v19, v21 :: v_dual_sub_f32 v10, v13, v14
	v_sub_f32_e32 v11, v23, v20
	v_dual_add_f32 v12, v7, v24 :: v_dual_sub_f32 v7, v0, v17
	v_sub_f32_e32 v0, v6, v4
	v_sub_f32_e32 v4, v152, v154
	;; [unrolled: 1-line block ×3, first 2 shown]
	ds_store_2addr_b64 v34, v[9:10], v[11:12] offset0:112 offset1:140
	v_dual_sub_f32 v9, v30, v32 :: v_dual_add_f32 v10, v33, v31
	v_dual_sub_f32 v11, v0, v2 :: v_dual_sub_f32 v12, v7, v0
	v_mul_f32_e32 v4, 0x3f4a47b2, v4
	v_mul_f32_e32 v6, 0x3f4a47b2, v6
	ds_store_b64 v34, v[9:10] offset:1344
	v_sub_f32_e32 v9, v1, v18
	v_sub_f32_e32 v1, v8, v5
	v_dual_sub_f32 v5, v154, v153 :: v_dual_add_f32 v10, v0, v2
	v_dual_sub_f32 v8, v158, v157 :: v_dual_mul_f32 v11, 0x3f08b237, v11
	s_delay_alu instid0(VALU_DEP_3) | instskip(SKIP_3) | instid1(VALU_DEP_4)
	v_add_f32_e32 v0, v1, v3
	v_sub_f32_e32 v13, v1, v3
	v_sub_f32_e32 v14, v9, v1
	v_dual_add_f32 v10, v10, v7 :: v_dual_fmamk_f32 v17, v159, 0xbf955555, v39
	v_add_f32_e32 v15, v0, v9
	s_delay_alu instid0(VALU_DEP_4) | instskip(SKIP_2) | instid1(VALU_DEP_3)
	v_mul_f32_e32 v13, 0x3f08b237, v13
	v_fmamk_f32 v0, v5, 0x3d64c772, v4
	v_dual_fmamk_f32 v21, v12, 0xbeae86e6, v11 :: v_dual_sub_f32 v2, v2, v7
	v_dual_sub_f32 v3, v3, v9 :: v_dual_fmamk_f32 v20, v14, 0xbeae86e6, v13
	s_delay_alu instid0(VALU_DEP_3) | instskip(SKIP_1) | instid1(VALU_DEP_4)
	v_add_f32_e32 v18, v0, v16
	v_fmamk_f32 v0, v8, 0x3d64c772, v6
	v_fmac_f32_e32 v21, 0xbee1c552, v10
	v_mul_f32_e32 v5, 0x3d64c772, v5
	v_fmac_f32_e32 v20, 0xbee1c552, v15
	v_mul_f32_e32 v7, 0x3f5ff5aa, v2
	v_add_f32_e32 v19, v0, v17
	s_delay_alu instid0(VALU_DEP_3) | instskip(NEXT) | instid1(VALU_DEP_3)
	v_dual_mul_f32 v9, 0x3f5ff5aa, v3 :: v_dual_add_f32 v0, v20, v18
	v_fmac_f32_e32 v7, 0x3eae86e6, v12
	s_delay_alu instid0(VALU_DEP_3) | instskip(NEXT) | instid1(VALU_DEP_3)
	v_sub_f32_e32 v1, v19, v21
	v_fmac_f32_e32 v9, 0x3eae86e6, v14
	s_delay_alu instid0(VALU_DEP_3) | instskip(SKIP_4) | instid1(VALU_DEP_3)
	v_fmac_f32_e32 v7, 0xbee1c552, v10
	ds_store_2addr_b64 v255, v[38:39], v[0:1] offset1:28
	v_sub_f32_e32 v0, v153, v152
	v_sub_f32_e32 v1, v157, v156
	v_fmac_f32_e32 v9, 0xbee1c552, v15
	v_fma_f32 v5, 0x3f3bfb3b, v0, -v5
	v_fma_f32 v0, 0xbf3bfb3b, v0, -v4
	v_mul_f32_e32 v4, 0x3d64c772, v8
	v_fma_f32 v8, 0xbf5ff5aa, v3, -v13
	s_delay_alu instid0(VALU_DEP_4) | instskip(NEXT) | instid1(VALU_DEP_3)
	v_add_f32_e32 v5, v5, v16
	v_fma_f32 v4, 0x3f3bfb3b, v1, -v4
	v_fma_f32 v1, 0xbf3bfb3b, v1, -v6
	;; [unrolled: 1-line block ×3, first 2 shown]
	v_dual_add_f32 v11, v0, v16 :: v_dual_fmac_f32 v8, 0xbee1c552, v15
	s_delay_alu instid0(VALU_DEP_4) | instskip(NEXT) | instid1(VALU_DEP_4)
	v_add_f32_e32 v4, v4, v17
	v_add_f32_e32 v12, v1, v17
	s_delay_alu instid0(VALU_DEP_4) | instskip(NEXT) | instid1(VALU_DEP_4)
	v_fmac_f32_e32 v6, 0xbee1c552, v10
	v_add_f32_e32 v0, v9, v11
	s_delay_alu instid0(VALU_DEP_3) | instskip(NEXT) | instid1(VALU_DEP_3)
	v_dual_sub_f32 v2, v5, v8 :: v_dual_sub_f32 v1, v12, v7
	v_add_f32_e32 v3, v6, v4
	ds_store_2addr_b64 v255, v[0:1], v[2:3] offset0:56 offset1:84
	v_add_f32_e32 v0, v8, v5
	v_dual_sub_f32 v1, v4, v6 :: v_dual_sub_f32 v2, v11, v9
	v_add_f32_e32 v3, v7, v12
	ds_store_2addr_b64 v255, v[0:1], v[2:3] offset0:112 offset1:140
	v_dual_sub_f32 v0, v18, v20 :: v_dual_add_f32 v1, v21, v19
	ds_store_b64 v255, v[0:1] offset:1344
	global_wb scope:SCOPE_SE
	s_wait_dscnt 0x0
	s_barrier_signal -1
	s_barrier_wait -1
	global_inv scope:SCOPE_SE
	scratch_load_b64 v[4:5], off, off offset:376 th:TH_LOAD_LU ; 8-byte Folded Reload
	ds_load_2addr_b64 v[0:3], v197 offset0:32 offset1:228
	s_wait_dscnt 0x0
	v_mul_f32_e32 v20, v239, v1
	s_delay_alu instid0(VALU_DEP_1) | instskip(SKIP_1) | instid1(VALU_DEP_1)
	v_fmac_f32_e32 v20, v238, v0
	v_mul_f32_e32 v0, v239, v0
	v_fma_f32 v21, v238, v1, -v0
	s_wait_loadcnt 0x0
	v_mul_f32_e32 v22, v5, v3
	v_mul_f32_e32 v0, v5, v2
	s_delay_alu instid0(VALU_DEP_2) | instskip(NEXT) | instid1(VALU_DEP_2)
	v_fmac_f32_e32 v22, v4, v2
	v_fma_f32 v23, v4, v3, -v0
	ds_load_2addr_b64 v[0:3], v196 offset0:40 offset1:236
	s_wait_dscnt 0x0
	v_mul_f32_e32 v24, v230, v1
	v_mul_f32_e32 v26, v248, v3
	s_delay_alu instid0(VALU_DEP_2) | instskip(SKIP_1) | instid1(VALU_DEP_3)
	v_fmac_f32_e32 v24, v229, v0
	v_mul_f32_e32 v0, v230, v0
	v_fmac_f32_e32 v26, v247, v2
	s_delay_alu instid0(VALU_DEP_2) | instskip(SKIP_1) | instid1(VALU_DEP_1)
	v_fma_f32 v25, v229, v1, -v0
	v_mul_f32_e32 v0, v248, v2
	v_fma_f32 v27, v247, v3, -v0
	ds_load_2addr_b64 v[0:3], v198 offset0:24 offset1:220
	s_wait_dscnt 0x0
	v_mul_f32_e32 v28, v250, v3
	v_mul_f32_e32 v30, v220, v1
	s_delay_alu instid0(VALU_DEP_2) | instskip(SKIP_1) | instid1(VALU_DEP_3)
	v_fmac_f32_e32 v28, v249, v2
	v_mul_f32_e32 v2, v250, v2
	v_fmac_f32_e32 v30, v219, v0
	v_mul_f32_e32 v0, v220, v0
	s_delay_alu instid0(VALU_DEP_3) | instskip(NEXT) | instid1(VALU_DEP_2)
	v_fma_f32 v29, v249, v3, -v2
	v_fma_f32 v31, v219, v1, -v0
	ds_load_2addr_b64 v[0:3], v202 offset0:16 offset1:212
	s_wait_dscnt 0x0
	v_mul_f32_e32 v4, v220, v3
	v_mul_f32_e32 v32, v143, v1
	s_delay_alu instid0(VALU_DEP_2) | instskip(SKIP_1) | instid1(VALU_DEP_3)
	v_fmac_f32_e32 v4, v219, v2
	v_mul_f32_e32 v2, v220, v2
	v_fmac_f32_e32 v32, v142, v0
	v_mul_f32_e32 v0, v143, v0
	s_delay_alu instid0(VALU_DEP_3) | instskip(NEXT) | instid1(VALU_DEP_2)
	v_fma_f32 v5, v219, v3, -v2
	v_fma_f32 v33, v142, v1, -v0
	ds_load_2addr_b64 v[0:3], v204 offset0:48 offset1:244
	s_wait_dscnt 0x0
	v_mul_f32_e32 v34, v141, v3
	v_mul_f32_e32 v36, v93, v1
	s_delay_alu instid0(VALU_DEP_2) | instskip(SKIP_1) | instid1(VALU_DEP_3)
	v_fmac_f32_e32 v34, v140, v2
	v_mul_f32_e32 v2, v141, v2
	v_fmac_f32_e32 v36, v92, v0
	v_mul_f32_e32 v0, v93, v0
	s_delay_alu instid0(VALU_DEP_3) | instskip(NEXT) | instid1(VALU_DEP_2)
	v_fma_f32 v35, v140, v3, -v2
	v_fma_f32 v37, v92, v1, -v0
	ds_load_2addr_b64 v[0:3], v199 offset0:8 offset1:204
	s_wait_dscnt 0x0
	v_mul_f32_e32 v38, v95, v3
	v_mul_f32_e32 v40, v91, v1
	s_delay_alu instid0(VALU_DEP_2) | instskip(SKIP_1) | instid1(VALU_DEP_3)
	v_fmac_f32_e32 v38, v94, v2
	v_mul_f32_e32 v2, v95, v2
	v_fmac_f32_e32 v40, v90, v0
	v_mul_f32_e32 v0, v91, v0
	s_delay_alu instid0(VALU_DEP_3) | instskip(NEXT) | instid1(VALU_DEP_2)
	v_fma_f32 v39, v94, v3, -v2
	v_fma_f32 v41, v90, v1, -v0
	ds_load_2addr_b64 v[0:3], v201 offset0:40 offset1:236
	s_wait_dscnt 0x0
	v_mul_f32_e32 v42, v89, v3
	v_mul_f32_e32 v44, v85, v1
	s_delay_alu instid0(VALU_DEP_2) | instskip(SKIP_1) | instid1(VALU_DEP_3)
	v_fmac_f32_e32 v42, v88, v2
	v_mul_f32_e32 v2, v89, v2
	v_fmac_f32_e32 v44, v84, v0
	v_mul_f32_e32 v0, v85, v0
	s_delay_alu instid0(VALU_DEP_3) | instskip(NEXT) | instid1(VALU_DEP_2)
	v_fma_f32 v43, v88, v3, -v2
	v_fma_f32 v45, v84, v1, -v0
	ds_load_2addr_b64 v[0:3], v203 offset1:196
	s_wait_dscnt 0x0
	v_mul_f32_e32 v46, v87, v3
	v_mul_f32_e32 v48, v83, v1
	s_delay_alu instid0(VALU_DEP_2) | instskip(SKIP_1) | instid1(VALU_DEP_3)
	v_fmac_f32_e32 v46, v86, v2
	v_mul_f32_e32 v2, v87, v2
	v_fmac_f32_e32 v48, v82, v0
	v_mul_f32_e32 v0, v83, v0
	s_delay_alu instid0(VALU_DEP_3) | instskip(NEXT) | instid1(VALU_DEP_2)
	v_fma_f32 v47, v86, v3, -v2
	v_fma_f32 v49, v82, v1, -v0
	ds_load_2addr_b64 v[0:3], v217 offset0:32 offset1:228
	s_wait_dscnt 0x0
	v_mul_f32_e32 v50, v81, v3
	v_mul_f32_e32 v52, v77, v1
	s_delay_alu instid0(VALU_DEP_2) | instskip(SKIP_1) | instid1(VALU_DEP_3)
	v_fmac_f32_e32 v50, v80, v2
	v_mul_f32_e32 v2, v81, v2
	v_fmac_f32_e32 v52, v76, v0
	v_mul_f32_e32 v0, v77, v0
	s_delay_alu instid0(VALU_DEP_3) | instskip(NEXT) | instid1(VALU_DEP_2)
	v_fma_f32 v51, v80, v3, -v2
	v_fma_f32 v53, v76, v1, -v0
	ds_load_2addr_b64 v[0:3], v200 offset0:56 offset1:252
	s_wait_dscnt 0x0
	v_mul_f32_e32 v6, v79, v1
	v_mul_f32_e32 v54, v79, v3
	s_delay_alu instid0(VALU_DEP_2) | instskip(SKIP_1) | instid1(VALU_DEP_3)
	v_fmac_f32_e32 v6, v78, v0
	v_mul_f32_e32 v0, v79, v0
	v_fmac_f32_e32 v54, v78, v2
	s_delay_alu instid0(VALU_DEP_2) | instskip(SKIP_1) | instid1(VALU_DEP_1)
	v_fma_f32 v7, v78, v1, -v0
	v_mul_f32_e32 v0, v79, v2
	v_fma_f32 v55, v78, v3, -v0
	ds_load_2addr_b64 v[0:3], v231 offset0:24 offset1:220
	s_wait_dscnt 0x0
	v_mul_f32_e32 v8, v77, v3
	s_delay_alu instid0(VALU_DEP_1) | instskip(SKIP_1) | instid1(VALU_DEP_2)
	v_fmac_f32_e32 v8, v76, v2
	v_mul_f32_e32 v2, v77, v2
	v_sub_f32_e32 v10, v8, v4
	s_delay_alu instid0(VALU_DEP_2) | instskip(NEXT) | instid1(VALU_DEP_2)
	v_fma_f32 v9, v76, v3, -v2
	v_fma_f32 v8, v8, 2.0, -v10
	s_delay_alu instid0(VALU_DEP_2) | instskip(SKIP_4) | instid1(VALU_DEP_1)
	v_sub_f32_e32 v11, v9, v5
	ds_load_2addr_b64 v[2:5], v233 offset1:196
	v_fma_f32 v9, v9, 2.0, -v11
	s_wait_dscnt 0x0
	v_dual_sub_f32 v6, v2, v6 :: v_dual_sub_f32 v7, v3, v7
	v_fma_f32 v12, v2, 2.0, -v6
	s_delay_alu instid0(VALU_DEP_2) | instskip(SKIP_1) | instid1(VALU_DEP_2)
	v_fma_f32 v13, v3, 2.0, -v7
	v_dual_add_f32 v14, v6, v11 :: v_dual_sub_f32 v15, v7, v10
	v_dual_sub_f32 v2, v12, v8 :: v_dual_sub_f32 v3, v13, v9
	s_delay_alu instid0(VALU_DEP_2) | instskip(NEXT) | instid1(VALU_DEP_3)
	v_fma_f32 v18, v6, 2.0, -v14
	v_fma_f32 v19, v7, 2.0, -v15
	s_delay_alu instid0(VALU_DEP_3) | instskip(NEXT) | instid1(VALU_DEP_4)
	v_fma_f32 v16, v12, 2.0, -v2
	v_fma_f32 v17, v13, 2.0, -v3
	ds_load_2addr_b64 v[6:9], v243 offset0:8 offset1:204
	ds_load_2addr_b64 v[10:13], v246 offset0:16 offset1:212
	global_wb scope:SCOPE_SE
	s_wait_dscnt 0x0
	s_barrier_signal -1
	s_barrier_wait -1
	global_inv scope:SCOPE_SE
	ds_store_2addr_b64 v233, v[16:17], v[18:19] offset1:196
	ds_store_2addr_b64 v243, v[2:3], v[14:15] offset0:8 offset1:204
	v_dual_sub_f32 v16, v4, v54 :: v_dual_sub_f32 v17, v5, v55
	s_delay_alu instid0(VALU_DEP_1) | instskip(NEXT) | instid1(VALU_DEP_2)
	v_fma_f32 v14, v4, 2.0, -v16
	v_fma_f32 v15, v5, 2.0, -v17
	v_dual_sub_f32 v5, v52, v30 :: v_dual_sub_f32 v4, v53, v31
	s_delay_alu instid0(VALU_DEP_1) | instskip(NEXT) | instid1(VALU_DEP_2)
	v_fma_f32 v2, v52, 2.0, -v5
	v_fma_f32 v3, v53, 2.0, -v4
	v_dual_add_f32 v4, v16, v4 :: v_dual_sub_f32 v5, v17, v5
	s_delay_alu instid0(VALU_DEP_2) | instskip(NEXT) | instid1(VALU_DEP_2)
	v_dual_sub_f32 v2, v14, v2 :: v_dual_sub_f32 v3, v15, v3
	v_fma_f32 v16, v16, 2.0, -v4
	s_delay_alu instid0(VALU_DEP_3) | instskip(NEXT) | instid1(VALU_DEP_3)
	v_fma_f32 v17, v17, 2.0, -v5
	v_fma_f32 v14, v14, 2.0, -v2
	s_delay_alu instid0(VALU_DEP_4)
	v_fma_f32 v15, v15, 2.0, -v3
	ds_store_2addr_b64 v246, v[14:15], v[16:17] offset0:16 offset1:212
	ds_store_2addr_b64 v231, v[2:3], v[4:5] offset0:24 offset1:220
	scratch_load_b32 v16, off, off offset:344 th:TH_LOAD_LU ; 4-byte Folded Reload
	v_dual_sub_f32 v5, v50, v28 :: v_dual_sub_f32 v4, v51, v29
	v_dual_sub_f32 v14, v6, v48 :: v_dual_sub_f32 v15, v7, v49
	s_delay_alu instid0(VALU_DEP_2) | instskip(NEXT) | instid1(VALU_DEP_3)
	v_fma_f32 v2, v50, 2.0, -v5
	v_fma_f32 v3, v51, 2.0, -v4
	s_delay_alu instid0(VALU_DEP_3) | instskip(NEXT) | instid1(VALU_DEP_4)
	v_fma_f32 v6, v6, 2.0, -v14
	v_fma_f32 v7, v7, 2.0, -v15
	v_dual_add_f32 v4, v14, v4 :: v_dual_sub_f32 v5, v15, v5
	s_delay_alu instid0(VALU_DEP_2) | instskip(NEXT) | instid1(VALU_DEP_2)
	v_dual_sub_f32 v2, v6, v2 :: v_dual_sub_f32 v3, v7, v3
	v_fma_f32 v14, v14, 2.0, -v4
	s_delay_alu instid0(VALU_DEP_3) | instskip(NEXT) | instid1(VALU_DEP_3)
	v_fma_f32 v15, v15, 2.0, -v5
	v_fma_f32 v6, v6, 2.0, -v2
	s_delay_alu instid0(VALU_DEP_4) | instskip(SKIP_4) | instid1(VALU_DEP_1)
	v_fma_f32 v7, v7, 2.0, -v3
	s_wait_loadcnt 0x0
	ds_store_2addr_b64 v16, v[6:7], v[14:15] offset0:32 offset1:228
	scratch_load_b32 v6, off, off offset:348 th:TH_LOAD_LU ; 4-byte Folded Reload
	v_dual_sub_f32 v14, v8, v46 :: v_dual_sub_f32 v15, v9, v47
	v_fma_f32 v7, v9, 2.0, -v15
	s_wait_loadcnt 0x0
	ds_store_2addr_b64 v6, v[2:3], v[4:5] offset0:40 offset1:236
	v_sub_f32_e32 v4, v45, v21
	v_fma_f32 v6, v8, 2.0, -v14
	v_sub_f32_e32 v5, v44, v20
	s_delay_alu instid0(VALU_DEP_3) | instskip(SKIP_1) | instid1(VALU_DEP_3)
	v_fma_f32 v3, v45, 2.0, -v4
	v_add_f32_e32 v4, v14, v4
	v_fma_f32 v2, v44, 2.0, -v5
	v_sub_f32_e32 v5, v15, v5
	s_delay_alu instid0(VALU_DEP_4) | instskip(NEXT) | instid1(VALU_DEP_4)
	v_sub_f32_e32 v3, v7, v3
	v_fma_f32 v8, v14, 2.0, -v4
	scratch_load_b32 v14, off, off offset:352 th:TH_LOAD_LU ; 4-byte Folded Reload
	v_sub_f32_e32 v2, v6, v2
	v_fma_f32 v9, v15, 2.0, -v5
	v_fma_f32 v7, v7, 2.0, -v3
	s_delay_alu instid0(VALU_DEP_3) | instskip(SKIP_4) | instid1(VALU_DEP_1)
	v_fma_f32 v6, v6, 2.0, -v2
	s_wait_loadcnt 0x0
	ds_store_2addr_b64 v14, v[6:7], v[8:9] offset0:48 offset1:244
	scratch_load_b32 v6, off, off offset:356 th:TH_LOAD_LU ; 4-byte Folded Reload
	v_dual_sub_f32 v8, v10, v40 :: v_dual_sub_f32 v9, v11, v41
	v_fma_f32 v7, v11, 2.0, -v9
	s_wait_loadcnt 0x0
	ds_store_2addr_b64 v6, v[2:3], v[4:5] offset0:56 offset1:252
	v_fma_f32 v6, v10, 2.0, -v8
	scratch_load_b32 v10, off, off offset:364 th:TH_LOAD_LU ; 4-byte Folded Reload
	v_dual_sub_f32 v5, v42, v22 :: v_dual_sub_f32 v4, v43, v23
	s_delay_alu instid0(VALU_DEP_1) | instskip(NEXT) | instid1(VALU_DEP_2)
	v_fma_f32 v2, v42, 2.0, -v5
	v_fma_f32 v3, v43, 2.0, -v4
	v_dual_add_f32 v4, v8, v4 :: v_dual_sub_f32 v5, v9, v5
	s_delay_alu instid0(VALU_DEP_2) | instskip(NEXT) | instid1(VALU_DEP_2)
	v_dual_sub_f32 v2, v6, v2 :: v_dual_sub_f32 v3, v7, v3
	v_fma_f32 v8, v8, 2.0, -v4
	s_delay_alu instid0(VALU_DEP_3) | instskip(NEXT) | instid1(VALU_DEP_3)
	v_fma_f32 v9, v9, 2.0, -v5
	v_fma_f32 v6, v6, 2.0, -v2
	s_delay_alu instid0(VALU_DEP_4)
	v_fma_f32 v7, v7, 2.0, -v3
	s_wait_loadcnt 0x0
	ds_store_2addr_b64 v10, v[6:7], v[8:9] offset1:196
	s_clause 0x1
	scratch_load_b32 v6, off, off offset:372 th:TH_LOAD_LU
	scratch_load_b32 v10, off, off offset:368 th:TH_LOAD_LU
	v_dual_sub_f32 v8, v12, v38 :: v_dual_sub_f32 v9, v13, v39
	s_delay_alu instid0(VALU_DEP_1) | instskip(SKIP_4) | instid1(VALU_DEP_2)
	v_fma_f32 v7, v13, 2.0, -v9
	s_wait_loadcnt 0x1
	ds_store_2addr_b64 v6, v[2:3], v[4:5] offset0:8 offset1:204
	v_dual_sub_f32 v5, v36, v24 :: v_dual_sub_f32 v4, v37, v25
	v_fma_f32 v6, v12, 2.0, -v8
	v_fma_f32 v2, v36, 2.0, -v5
	s_delay_alu instid0(VALU_DEP_3) | instskip(SKIP_1) | instid1(VALU_DEP_2)
	v_fma_f32 v3, v37, 2.0, -v4
	v_dual_add_f32 v4, v8, v4 :: v_dual_sub_f32 v5, v9, v5
	v_dual_sub_f32 v2, v6, v2 :: v_dual_sub_f32 v3, v7, v3
	s_delay_alu instid0(VALU_DEP_2) | instskip(NEXT) | instid1(VALU_DEP_3)
	v_fma_f32 v8, v8, 2.0, -v4
	v_fma_f32 v9, v9, 2.0, -v5
	s_delay_alu instid0(VALU_DEP_3) | instskip(NEXT) | instid1(VALU_DEP_4)
	v_fma_f32 v6, v6, 2.0, -v2
	v_fma_f32 v7, v7, 2.0, -v3
	s_wait_loadcnt 0x0
	ds_store_2addr_b64 v10, v[6:7], v[8:9] offset0:16 offset1:212
	s_clause 0x1
	scratch_load_b32 v6, off, off offset:392 th:TH_LOAD_LU
	scratch_load_b32 v8, off, off offset:388 th:TH_LOAD_LU
	v_sub_f32_e32 v7, v1, v33
	s_wait_loadcnt 0x1
	ds_store_2addr_b64 v6, v[2:3], v[4:5] offset0:24 offset1:220
	v_dual_sub_f32 v6, v0, v32 :: v_dual_sub_f32 v3, v34, v26
	v_sub_f32_e32 v2, v35, v27
	v_fma_f32 v5, v1, 2.0, -v7
	s_delay_alu instid0(VALU_DEP_3) | instskip(NEXT) | instid1(VALU_DEP_4)
	v_fma_f32 v4, v0, 2.0, -v6
	v_fma_f32 v0, v34, 2.0, -v3
	s_delay_alu instid0(VALU_DEP_4) | instskip(SKIP_1) | instid1(VALU_DEP_2)
	v_fma_f32 v1, v35, 2.0, -v2
	v_dual_add_f32 v2, v6, v2 :: v_dual_sub_f32 v3, v7, v3
	v_dual_sub_f32 v0, v4, v0 :: v_dual_sub_f32 v1, v5, v1
	s_delay_alu instid0(VALU_DEP_2) | instskip(NEXT) | instid1(VALU_DEP_3)
	v_fma_f32 v6, v6, 2.0, -v2
	v_fma_f32 v7, v7, 2.0, -v3
	s_delay_alu instid0(VALU_DEP_3) | instskip(NEXT) | instid1(VALU_DEP_4)
	v_fma_f32 v4, v4, 2.0, -v0
	v_fma_f32 v5, v5, 2.0, -v1
	s_wait_loadcnt 0x0
	ds_store_2addr_b64 v8, v[4:5], v[6:7] offset0:32 offset1:228
	scratch_load_b32 v4, off, off offset:384 th:TH_LOAD_LU ; 4-byte Folded Reload
	s_wait_loadcnt 0x0
	ds_store_2addr_b64 v4, v[0:1], v[2:3] offset0:40 offset1:236
	global_wb scope:SCOPE_SE
	s_wait_dscnt 0x0
	s_barrier_signal -1
	s_barrier_wait -1
	global_inv scope:SCOPE_SE
	ds_load_2addr_b64 v[0:3], v246 offset0:16 offset1:212
	ds_load_2addr_b64 v[4:7], v217 offset0:32 offset1:228
	;; [unrolled: 1-line block ×4, first 2 shown]
	s_wait_dscnt 0x3
	v_mul_f32_e32 v40, v121, v1
	v_mul_f32_e32 v12, v133, v3
	s_wait_dscnt 0x2
	v_mul_f32_e32 v42, v123, v5
	v_mul_f32_e32 v14, v135, v7
	s_wait_dscnt 0x1
	v_mul_f32_e32 v30, v119, v9
	v_fmac_f32_e32 v40, v120, v0
	v_mul_f32_e32 v0, v121, v0
	v_fmac_f32_e32 v12, v132, v2
	v_fmac_f32_e32 v42, v122, v4
	;; [unrolled: 1-line block ×4, first 2 shown]
	v_fma_f32 v41, v120, v1, -v0
	v_mul_f32_e32 v0, v123, v4
	s_wait_dscnt 0x0
	v_mul_f32_e32 v54, v107, v33
	s_delay_alu instid0(VALU_DEP_2) | instskip(SKIP_1) | instid1(VALU_DEP_3)
	v_fma_f32 v43, v122, v5, -v0
	v_mul_f32_e32 v0, v133, v2
	v_fmac_f32_e32 v54, v106, v32
	s_delay_alu instid0(VALU_DEP_2) | instskip(SKIP_1) | instid1(VALU_DEP_1)
	v_fma_f32 v13, v132, v3, -v0
	v_mul_f32_e32 v0, v135, v6
	v_fma_f32 v15, v134, v7, -v0
	ds_load_2addr_b64 v[0:3], v204 offset0:48 offset1:244
	ds_load_2addr_b64 v[4:7], v203 offset1:196
	s_wait_dscnt 0x1
	v_mul_f32_e32 v44, v145, v1
	v_mul_f32_e32 v16, v125, v3
	s_wait_dscnt 0x0
	v_mul_f32_e32 v46, v147, v5
	v_mul_f32_e32 v18, v127, v7
	v_fmac_f32_e32 v44, v144, v0
	v_mul_f32_e32 v0, v145, v0
	v_fmac_f32_e32 v16, v124, v2
	v_fmac_f32_e32 v46, v146, v4
	;; [unrolled: 1-line block ×3, first 2 shown]
	s_delay_alu instid0(VALU_DEP_4) | instskip(SKIP_1) | instid1(VALU_DEP_4)
	v_fma_f32 v45, v144, v1, -v0
	v_mul_f32_e32 v0, v147, v4
	v_add_f32_e32 v58, v44, v46
	s_delay_alu instid0(VALU_DEP_4) | instskip(NEXT) | instid1(VALU_DEP_3)
	v_add_f32_e32 v66, v16, v18
	v_fma_f32 v47, v146, v5, -v0
	v_mul_f32_e32 v0, v125, v2
	s_delay_alu instid0(VALU_DEP_2) | instskip(NEXT) | instid1(VALU_DEP_2)
	v_add_f32_e32 v62, v45, v47
	v_fma_f32 v17, v124, v3, -v0
	v_mul_f32_e32 v0, v127, v6
	s_delay_alu instid0(VALU_DEP_1)
	v_fma_f32 v19, v126, v7, -v0
	ds_load_2addr_b64 v[0:3], v202 offset0:16 offset1:212
	ds_load_2addr_b64 v[4:7], v197 offset0:32 offset1:228
	v_add_f32_e32 v70, v17, v19
	s_wait_dscnt 0x1
	v_mul_f32_e32 v48, v137, v1
	v_mul_f32_e32 v20, v113, v3
	s_wait_dscnt 0x0
	v_mul_f32_e32 v50, v139, v5
	v_mul_f32_e32 v22, v115, v7
	v_fmac_f32_e32 v48, v136, v0
	v_mul_f32_e32 v0, v137, v0
	v_fmac_f32_e32 v20, v112, v2
	v_fmac_f32_e32 v50, v138, v4
	;; [unrolled: 1-line block ×3, first 2 shown]
	v_add_f32_e32 v57, v42, v48
	v_fma_f32 v49, v136, v1, -v0
	v_mul_f32_e32 v0, v139, v4
	v_add_f32_e32 v56, v40, v50
	v_dual_add_f32 v64, v12, v22 :: v_dual_add_f32 v65, v14, v20
	s_delay_alu instid0(VALU_DEP_4) | instskip(NEXT) | instid1(VALU_DEP_4)
	v_add_f32_e32 v61, v43, v49
	v_fma_f32 v51, v138, v5, -v0
	v_mul_f32_e32 v0, v113, v2
	v_sub_f32_e32 v40, v40, v50
	v_sub_f32_e32 v22, v12, v22
	;; [unrolled: 1-line block ×3, first 2 shown]
	v_add_f32_e32 v60, v41, v51
	v_fma_f32 v21, v112, v3, -v0
	v_dual_mul_f32 v0, v115, v6 :: v_dual_sub_f32 v41, v41, v51
	s_delay_alu instid0(VALU_DEP_2) | instskip(NEXT) | instid1(VALU_DEP_2)
	v_dual_sub_f32 v12, v18, v16 :: v_dual_add_f32 v69, v15, v21
	v_fma_f32 v27, v114, v7, -v0
	ds_load_2addr_b64 v[0:3], v231 offset0:24 offset1:220
	ds_load_2addr_b64 v[4:7], v201 offset0:40 offset1:236
	v_dual_sub_f32 v21, v15, v21 :: v_dual_add_f32 v68, v13, v27
	v_sub_f32_e32 v27, v13, v27
	v_sub_f32_e32 v13, v19, v17
	s_wait_dscnt 0x1
	v_mul_f32_e32 v23, v129, v1
	s_wait_dscnt 0x0
	v_mul_f32_e32 v25, v131, v5
	s_delay_alu instid0(VALU_DEP_2) | instskip(SKIP_1) | instid1(VALU_DEP_2)
	v_fmac_f32_e32 v23, v128, v0
	v_mul_f32_e32 v0, v129, v0
	v_dual_fmac_f32 v25, v130, v4 :: v_dual_add_f32 v18, v23, v54
	s_delay_alu instid0(VALU_DEP_2) | instskip(SKIP_2) | instid1(VALU_DEP_2)
	v_fma_f32 v24, v128, v1, -v0
	v_dual_mul_f32 v0, v131, v4 :: v_dual_mul_f32 v1, v109, v2
	v_sub_f32_e32 v19, v23, v54
	v_fma_f32 v26, v130, v5, -v0
	v_mul_f32_e32 v0, v109, v3
	s_delay_alu instid0(VALU_DEP_4) | instskip(SKIP_1) | instid1(VALU_DEP_3)
	v_fma_f32 v1, v108, v3, -v1
	v_mul_f32_e32 v3, v111, v6
	v_fmac_f32_e32 v0, v108, v2
	v_mul_f32_e32 v2, v111, v7
	s_delay_alu instid0(VALU_DEP_3) | instskip(NEXT) | instid1(VALU_DEP_2)
	v_fma_f32 v3, v110, v7, -v3
	v_fmac_f32_e32 v2, v110, v6
	ds_load_2addr_b64 v[4:7], v200 offset0:56 offset1:252
	s_wait_dscnt 0x0
	v_mul_f32_e32 v28, v117, v5
	s_delay_alu instid0(VALU_DEP_1) | instskip(SKIP_1) | instid1(VALU_DEP_2)
	v_fmac_f32_e32 v28, v116, v4
	v_mul_f32_e32 v4, v117, v4
	v_add_f32_e32 v14, v28, v30
	s_delay_alu instid0(VALU_DEP_2) | instskip(SKIP_3) | instid1(VALU_DEP_3)
	v_fma_f32 v29, v116, v5, -v4
	v_dual_mul_f32 v4, v119, v8 :: v_dual_mul_f32 v5, v97, v6
	v_dual_sub_f32 v15, v30, v28 :: v_dual_sub_f32 v28, v64, v66
	v_sub_f32_e32 v30, v68, v70
	v_fma_f32 v31, v118, v9, -v4
	v_mul_f32_e32 v4, v97, v7
	v_fma_f32 v5, v96, v7, -v5
	v_dual_mul_f32 v7, v99, v10 :: v_dual_mul_f32 v28, 0x3f4a47b2, v28
	s_delay_alu instid0(VALU_DEP_4) | instskip(NEXT) | instid1(VALU_DEP_4)
	v_add_f32_e32 v16, v29, v31
	v_fmac_f32_e32 v4, v96, v6
	v_mul_f32_e32 v6, v99, v11
	s_delay_alu instid0(VALU_DEP_4)
	v_fma_f32 v7, v98, v11, -v7
	v_sub_f32_e32 v17, v31, v29
	v_sub_f32_e32 v29, v66, v65
	;; [unrolled: 1-line block ×3, first 2 shown]
	v_fmac_f32_e32 v6, v98, v10
	ds_load_2addr_b64 v[8:11], v198 offset0:24 offset1:220
	v_mul_f32_e32 v30, 0x3f4a47b2, v30
	s_wait_dscnt 0x0
	v_mul_f32_e32 v52, v105, v9
	s_delay_alu instid0(VALU_DEP_1) | instskip(SKIP_1) | instid1(VALU_DEP_1)
	v_fmac_f32_e32 v52, v104, v8
	v_mul_f32_e32 v8, v105, v8
	v_fma_f32 v53, v104, v9, -v8
	v_mul_f32_e32 v8, v107, v32
	v_add_f32_e32 v32, v57, v56
	v_mul_f32_e32 v9, v101, v10
	s_delay_alu instid0(VALU_DEP_3) | instskip(NEXT) | instid1(VALU_DEP_3)
	v_fma_f32 v55, v106, v33, -v8
	v_add_f32_e32 v59, v58, v32
	v_add_f32_e32 v32, v61, v60
	v_mul_f32_e32 v8, v101, v11
	v_fma_f32 v9, v100, v11, -v9
	v_mul_f32_e32 v11, v103, v34
	v_add_f32_e32 v23, v24, v55
	v_add_f32_e32 v63, v62, v32
	;; [unrolled: 1-line block ×3, first 2 shown]
	v_fmac_f32_e32 v8, v100, v10
	v_mul_f32_e32 v10, v103, v35
	v_fma_f32 v11, v102, v35, -v11
	s_delay_alu instid0(VALU_DEP_4) | instskip(SKIP_1) | instid1(VALU_DEP_4)
	v_dual_sub_f32 v24, v24, v55 :: v_dual_add_f32 v67, v66, v32
	v_add_f32_e32 v32, v69, v68
	v_dual_fmac_f32 v10, v102, v34 :: v_dual_sub_f32 v55, v19, v15
	s_delay_alu instid0(VALU_DEP_2)
	v_add_f32_e32 v71, v70, v32
	ds_load_2addr_b64 v[32:35], v233 offset1:196
	s_wait_dscnt 0x0
	v_add_f32_e32 v36, v32, v59
	v_dual_add_f32 v37, v33, v63 :: v_dual_sub_f32 v32, v42, v48
	v_dual_sub_f32 v33, v43, v49 :: v_dual_sub_f32 v42, v46, v44
	v_dual_sub_f32 v43, v47, v45 :: v_dual_sub_f32 v44, v57, v56
	s_delay_alu instid0(VALU_DEP_3) | instskip(NEXT) | instid1(VALU_DEP_3)
	v_dual_sub_f32 v45, v58, v57 :: v_dual_sub_f32 v48, v32, v40
	v_sub_f32_e32 v50, v33, v41
	v_sub_f32_e32 v56, v56, v58
	;; [unrolled: 1-line block ×3, first 2 shown]
	v_add_f32_e32 v38, v34, v67
	v_sub_f32_e32 v47, v62, v61
	v_dual_add_f32 v34, v42, v32 :: v_dual_add_f32 v39, v35, v71
	v_sub_f32_e32 v46, v61, v60
	v_dual_sub_f32 v35, v42, v32 :: v_dual_add_f32 v32, v43, v33
	v_dual_sub_f32 v49, v43, v33 :: v_dual_sub_f32 v60, v40, v42
	v_sub_f32_e32 v62, v41, v43
	v_mul_f32_e32 v56, 0x3f4a47b2, v56
	v_mul_f32_e32 v58, 0x3f4a47b2, v58
	v_dual_mul_f32 v42, 0x3f5ff5aa, v50 :: v_dual_mul_f32 v43, 0x3f5ff5aa, v48
	v_dual_add_f32 v51, v34, v40 :: v_dual_mul_f32 v34, 0x3d64c772, v47
	v_fmamk_f32 v57, v59, 0xbf955555, v36
	v_fmamk_f32 v59, v63, 0xbf955555, v37
	v_mul_f32_e32 v33, 0x3d64c772, v45
	v_add_f32_e32 v61, v32, v41
	v_fma_f32 v40, 0xbf3bfb3b, v44, -v56
	v_fma_f32 v41, 0xbf3bfb3b, v46, -v58
	v_dual_fmac_f32 v42, 0x3eae86e6, v62 :: v_dual_fmac_f32 v43, 0x3eae86e6, v60
	v_fma_f32 v34, 0x3f3bfb3b, v46, -v34
	v_mul_f32_e32 v49, 0x3f08b237, v49
	v_mul_f32_e32 v63, 0x3f08b237, v35
	v_fma_f32 v33, 0x3f3bfb3b, v44, -v33
	v_add_f32_e32 v44, v40, v57
	v_add_f32_e32 v46, v41, v59
	v_dual_fmac_f32 v42, 0xbee1c552, v61 :: v_dual_fmac_f32 v43, 0xbee1c552, v51
	v_add_f32_e32 v72, v34, v59
	v_fma_f32 v34, 0xbf5ff5aa, v50, -v49
	v_fma_f32 v73, 0xbf5ff5aa, v48, -v63
	s_delay_alu instid0(VALU_DEP_4)
	v_add_f32_e32 v40, v42, v44
	v_dual_sub_f32 v41, v46, v43 :: v_dual_sub_f32 v42, v44, v42
	v_dual_add_f32 v43, v43, v46 :: v_dual_fmamk_f32 v44, v45, 0x3d64c772, v56
	v_fmamk_f32 v45, v47, 0x3d64c772, v58
	v_fmamk_f32 v46, v62, 0xbeae86e6, v49
	v_fmamk_f32 v47, v60, 0xbeae86e6, v63
	v_add_f32_e32 v35, v33, v57
	v_dual_fmac_f32 v34, 0xbee1c552, v61 :: v_dual_fmac_f32 v73, 0xbee1c552, v51
	v_dual_add_f32 v48, v44, v57 :: v_dual_add_f32 v49, v45, v59
	s_delay_alu instid0(VALU_DEP_4) | instskip(NEXT) | instid1(VALU_DEP_3)
	v_dual_fmac_f32 v46, 0xbee1c552, v61 :: v_dual_fmac_f32 v47, 0xbee1c552, v51
	v_dual_sub_f32 v32, v35, v34 :: v_dual_add_f32 v33, v73, v72
	v_dual_add_f32 v34, v34, v35 :: v_dual_sub_f32 v35, v72, v73
	s_delay_alu instid0(VALU_DEP_3)
	v_dual_add_f32 v44, v46, v48 :: v_dual_sub_f32 v45, v49, v47
	v_dual_sub_f32 v46, v48, v46 :: v_dual_add_f32 v47, v47, v49
	ds_store_b64 v233, v[40:41] offset:12544
	ds_store_b64 v233, v[32:33] offset:18816
	;; [unrolled: 1-line block ×6, first 2 shown]
	v_add_f32_e32 v40, v12, v20
	v_sub_f32_e32 v41, v12, v20
	v_sub_f32_e32 v42, v22, v12
	v_add_f32_e32 v12, v13, v21
	ds_load_2addr_b64 v[32:35], v243 offset0:8 offset1:204
	ds_store_2addr_b64 v233, v[36:37], v[38:39] offset1:196
	v_fmamk_f32 v36, v67, 0xbf955555, v38
	v_fmamk_f32 v37, v71, 0xbf955555, v39
	v_dual_add_f32 v45, v12, v27 :: v_dual_fmamk_f32 v12, v29, 0x3d64c772, v28
	v_dual_add_f32 v38, v25, v52 :: v_dual_add_f32 v39, v26, v53
	v_dual_sub_f32 v25, v25, v52 :: v_dual_sub_f32 v26, v26, v53
	s_delay_alu instid0(VALU_DEP_3) | instskip(SKIP_2) | instid1(VALU_DEP_2)
	v_add_f32_e32 v46, v12, v36
	v_dual_fmamk_f32 v12, v31, 0x3d64c772, v30 :: v_dual_sub_f32 v43, v13, v21
	v_dual_sub_f32 v44, v27, v13 :: v_dual_sub_f32 v51, v18, v14
	v_dual_sub_f32 v52, v14, v38 :: v_dual_add_f32 v47, v12, v37
	v_add_f32_e32 v12, v38, v18
	v_add_f32_e32 v13, v17, v26
	v_dual_sub_f32 v53, v23, v16 :: v_dual_sub_f32 v54, v16, v39
	s_delay_alu instid0(VALU_DEP_3) | instskip(SKIP_1) | instid1(VALU_DEP_4)
	v_dual_mul_f32 v41, 0x3f08b237, v41 :: v_dual_add_f32 v50, v14, v12
	v_add_f32_e32 v12, v39, v23
	v_dual_add_f32 v58, v13, v24 :: v_dual_mul_f32 v43, 0x3f08b237, v43
	v_sub_f32_e32 v56, v24, v17
	v_add_f32_e32 v40, v40, v22
	s_delay_alu instid0(VALU_DEP_4) | instskip(SKIP_3) | instid1(VALU_DEP_3)
	v_add_f32_e32 v14, v16, v12
	v_add_f32_e32 v12, v15, v25
	v_dual_sub_f32 v16, v15, v25 :: v_dual_sub_f32 v15, v17, v26
	s_wait_dscnt 0x1
	v_dual_fmamk_f32 v48, v42, 0xbeae86e6, v41 :: v_dual_add_f32 v13, v33, v14
	s_delay_alu instid0(VALU_DEP_3) | instskip(SKIP_4) | instid1(VALU_DEP_4)
	v_add_f32_e32 v57, v12, v19
	v_add_f32_e32 v12, v32, v50
	v_dual_mul_f32 v32, 0x3f4a47b2, v51 :: v_dual_mul_f32 v33, 0x3f4a47b2, v53
	v_mul_f32_e32 v51, 0x3f08b237, v16
	v_mul_f32_e32 v53, 0x3f08b237, v15
	v_fmamk_f32 v50, v50, 0xbf955555, v12
	v_fmamk_f32 v59, v14, 0xbf955555, v13
	;; [unrolled: 1-line block ×6, first 2 shown]
	v_fmac_f32_e32 v48, 0xbee1c552, v40
	v_add_f32_e32 v60, v14, v50
	v_fmamk_f32 v14, v54, 0x3d64c772, v33
	v_dual_fmac_f32 v49, 0xbee1c552, v45 :: v_dual_fmac_f32 v62, 0xbee1c552, v58
	v_fmac_f32_e32 v63, 0xbee1c552, v57
	v_sub_f32_e32 v15, v47, v48
	s_delay_alu instid0(VALU_DEP_3) | instskip(NEXT) | instid1(VALU_DEP_4)
	v_dual_add_f32 v61, v14, v59 :: v_dual_add_f32 v14, v49, v46
	v_add_f32_e32 v16, v62, v60
	v_sub_f32_e32 v20, v20, v22
	v_sub_f32_e32 v22, v65, v64
	s_delay_alu instid0(VALU_DEP_4)
	v_sub_f32_e32 v17, v61, v63
	v_sub_f32_e32 v21, v21, v27
	v_dual_sub_f32 v19, v25, v19 :: v_dual_sub_f32 v24, v26, v24
	v_sub_f32_e32 v64, v69, v68
	ds_store_2addr_b64 v241, v[14:15], v[16:17] offset0:20 offset1:216
	v_mul_f32_e32 v27, 0x3f5ff5aa, v20
	v_dual_mul_f32 v25, 0x3f5ff5aa, v21 :: v_dual_sub_f32 v18, v38, v18
	v_sub_f32_e32 v23, v39, v23
	v_mul_f32_e32 v26, 0x3f5ff5aa, v19
	v_mul_f32_e32 v38, 0x3f5ff5aa, v24
	v_fma_f32 v14, 0xbf3bfb3b, v22, -v28
	v_fmac_f32_e32 v27, 0x3eae86e6, v42
	s_delay_alu instid0(VALU_DEP_4) | instskip(NEXT) | instid1(VALU_DEP_4)
	v_dual_fmac_f32 v25, 0x3eae86e6, v44 :: v_dual_fmac_f32 v26, 0x3eae86e6, v55
	v_fmac_f32_e32 v38, 0x3eae86e6, v56
	v_fma_f32 v15, 0xbf3bfb3b, v64, -v30
	v_add_f32_e32 v28, v14, v36
	v_fma_f32 v14, 0xbf3bfb3b, v18, -v32
	v_fma_f32 v16, 0xbf3bfb3b, v23, -v33
	v_fmac_f32_e32 v25, 0xbee1c552, v45
	v_dual_add_f32 v30, v15, v37 :: v_dual_fmac_f32 v27, 0xbee1c552, v40
	s_delay_alu instid0(VALU_DEP_3) | instskip(SKIP_2) | instid1(VALU_DEP_4)
	v_dual_add_f32 v32, v14, v50 :: v_dual_add_f32 v33, v16, v59
	v_fmac_f32_e32 v38, 0xbee1c552, v58
	v_fmac_f32_e32 v26, 0xbee1c552, v57
	v_dual_add_f32 v14, v25, v28 :: v_dual_sub_f32 v15, v30, v27
	v_fma_f32 v20, 0xbf5ff5aa, v20, -v41
	s_delay_alu instid0(VALU_DEP_3) | instskip(SKIP_2) | instid1(VALU_DEP_4)
	v_dual_add_f32 v16, v38, v32 :: v_dual_sub_f32 v17, v33, v26
	v_fma_f32 v21, 0xbf5ff5aa, v21, -v43
	v_fma_f32 v19, 0xbf5ff5aa, v19, -v51
	v_fmac_f32_e32 v20, 0xbee1c552, v40
	ds_store_2addr_b64 v240, v[14:15], v[16:17] offset0:36 offset1:232
	v_dual_mul_f32 v14, 0x3d64c772, v29 :: v_dual_mul_f32 v15, 0x3d64c772, v31
	v_fmac_f32_e32 v21, 0xbee1c552, v45
	v_fmac_f32_e32 v19, 0xbee1c552, v57
	s_delay_alu instid0(VALU_DEP_3) | instskip(NEXT) | instid1(VALU_DEP_4)
	v_fma_f32 v14, 0x3f3bfb3b, v22, -v14
	v_fma_f32 v15, 0x3f3bfb3b, v64, -v15
	s_delay_alu instid0(VALU_DEP_1) | instskip(SKIP_1) | instid1(VALU_DEP_1)
	v_dual_add_f32 v22, v14, v36 :: v_dual_add_f32 v29, v15, v37
	v_dual_mul_f32 v14, 0x3d64c772, v52 :: v_dual_mul_f32 v15, 0x3d64c772, v54
	v_fma_f32 v14, 0x3f3bfb3b, v18, -v14
	s_delay_alu instid0(VALU_DEP_2) | instskip(SKIP_1) | instid1(VALU_DEP_2)
	v_fma_f32 v15, 0x3f3bfb3b, v23, -v15
	v_fma_f32 v18, 0xbf5ff5aa, v24, -v53
	v_dual_add_f32 v23, v14, v50 :: v_dual_add_f32 v24, v15, v59
	s_delay_alu instid0(VALU_DEP_2) | instskip(SKIP_2) | instid1(VALU_DEP_4)
	v_fmac_f32_e32 v18, 0xbee1c552, v58
	v_sub_f32_e32 v14, v22, v21
	v_add_f32_e32 v15, v20, v29
	v_add_f32_e32 v17, v19, v24
	s_delay_alu instid0(VALU_DEP_4)
	v_sub_f32_e32 v16, v23, v18
	ds_store_2addr_b64 v218, v[14:15], v[16:17] offset0:52 offset1:248
	v_add_f32_e32 v14, v21, v22
	v_dual_sub_f32 v15, v29, v20 :: v_dual_add_f32 v16, v18, v23
	v_sub_f32_e32 v17, v24, v19
	v_add_f32_e32 v18, v4, v6
	v_dual_add_f32 v20, v1, v11 :: v_dual_add_f32 v21, v3, v9
	v_add_f32_e32 v22, v5, v7
	ds_store_2addr_b64 v232, v[14:15], v[16:17] offset0:4 offset1:200
	v_dual_sub_f32 v14, v28, v25 :: v_dual_add_f32 v15, v27, v30
	v_dual_sub_f32 v16, v32, v38 :: v_dual_add_f32 v17, v26, v33
	v_dual_sub_f32 v4, v6, v4 :: v_dual_sub_f32 v11, v1, v11
	v_sub_f32_e32 v1, v3, v9
	v_sub_f32_e32 v5, v7, v5
	ds_store_2addr_b64 v242, v[14:15], v[16:17] offset0:20 offset1:216
	v_dual_sub_f32 v14, v46, v49 :: v_dual_add_f32 v15, v48, v47
	v_dual_sub_f32 v16, v60, v62 :: v_dual_add_f32 v17, v63, v61
	v_sub_f32_e32 v9, v22, v21
	v_sub_f32_e32 v7, v21, v20
	ds_store_2addr_b64 v244, v[14:15], v[16:17] offset0:36 offset1:232
	v_dual_add_f32 v16, v0, v10 :: v_dual_add_f32 v17, v2, v8
	v_sub_f32_e32 v10, v0, v10
	v_sub_f32_e32 v0, v2, v8
	s_delay_alu instid0(VALU_DEP_3) | instskip(SKIP_1) | instid1(VALU_DEP_3)
	v_add_f32_e32 v14, v17, v16
	v_sub_f32_e32 v6, v17, v16
	v_sub_f32_e32 v3, v4, v0
	v_add_f32_e32 v2, v4, v0
	v_sub_f32_e32 v8, v18, v17
	v_dual_add_f32 v19, v18, v14 :: v_dual_add_f32 v14, v21, v20
	v_sub_f32_e32 v16, v16, v18
	v_dual_sub_f32 v18, v20, v22 :: v_dual_sub_f32 v17, v1, v11
	s_delay_alu instid0(VALU_DEP_3) | instskip(NEXT) | instid1(VALU_DEP_4)
	v_add_f32_e32 v23, v22, v14
	v_add_f32_e32 v14, v34, v19
	s_delay_alu instid0(VALU_DEP_3) | instskip(NEXT) | instid1(VALU_DEP_3)
	v_mul_f32_e32 v18, 0x3f4a47b2, v18
	v_dual_mul_f32 v16, 0x3f4a47b2, v16 :: v_dual_add_f32 v15, v35, v23
	ds_store_2addr_b64 v243, v[12:13], v[14:15] offset0:8 offset1:204
	v_fmamk_f32 v12, v19, 0xbf955555, v14
	v_dual_fmamk_f32 v13, v23, 0xbf955555, v15 :: v_dual_sub_f32 v14, v0, v10
	v_mul_f32_e32 v23, 0x3f08b237, v3
	v_sub_f32_e32 v15, v5, v1
	v_dual_add_f32 v19, v2, v10 :: v_dual_mul_f32 v2, 0x3d64c772, v9
	v_add_f32_e32 v0, v5, v1
	s_delay_alu instid0(VALU_DEP_4)
	v_fma_f32 v25, 0xbf5ff5aa, v14, -v23
	v_sub_f32_e32 v10, v10, v4
	v_mul_f32_e32 v14, 0x3f5ff5aa, v14
	v_fma_f32 v2, 0x3f3bfb3b, v7, -v2
	v_mul_f32_e32 v15, 0x3f08b237, v15
	v_add_f32_e32 v21, v0, v11
	v_sub_f32_e32 v11, v11, v5
	v_fma_f32 v5, 0xbf3bfb3b, v7, -v18
	v_fmac_f32_e32 v14, 0x3eae86e6, v10
	v_add_f32_e32 v24, v2, v13
	v_fma_f32 v2, 0xbf5ff5aa, v17, -v15
	v_mul_f32_e32 v17, 0x3f5ff5aa, v17
	v_mul_f32_e32 v1, 0x3d64c772, v8
	v_dual_add_f32 v7, v5, v13 :: v_dual_fmac_f32 v14, 0xbee1c552, v19
	v_fma_f32 v4, 0xbf3bfb3b, v6, -v16
	s_delay_alu instid0(VALU_DEP_4) | instskip(NEXT) | instid1(VALU_DEP_4)
	v_fmac_f32_e32 v17, 0x3eae86e6, v11
	v_fma_f32 v1, 0x3f3bfb3b, v6, -v1
	s_delay_alu instid0(VALU_DEP_4)
	v_dual_fmamk_f32 v8, v8, 0x3d64c772, v16 :: v_dual_sub_f32 v5, v7, v14
	v_add_f32_e32 v7, v14, v7
	v_fmamk_f32 v9, v9, 0x3d64c772, v18
	v_fmamk_f32 v11, v11, 0xbeae86e6, v15
	v_fmamk_f32 v14, v10, 0xbeae86e6, v23
	v_dual_add_f32 v6, v4, v12 :: v_dual_fmac_f32 v17, 0xbee1c552, v21
	v_dual_add_f32 v3, v1, v12 :: v_dual_fmac_f32 v2, 0xbee1c552, v21
	v_dual_fmac_f32 v25, 0xbee1c552, v19 :: v_dual_add_f32 v10, v8, v12
	v_add_f32_e32 v12, v9, v13
	v_dual_fmac_f32 v11, 0xbee1c552, v21 :: v_dual_fmac_f32 v14, 0xbee1c552, v19
	v_add_f32_e32 v4, v17, v6
	s_delay_alu instid0(VALU_DEP_4)
	v_dual_sub_f32 v0, v3, v2 :: v_dual_add_f32 v1, v25, v24
	v_dual_add_f32 v2, v2, v3 :: v_dual_sub_f32 v3, v24, v25
	v_sub_f32_e32 v6, v6, v17
	v_add_f32_e32 v8, v11, v10
	v_dual_sub_f32 v9, v12, v14 :: v_dual_sub_f32 v10, v10, v11
	v_add_f32_e32 v11, v14, v12
	ds_store_b64 v233, v[4:5] offset:17248
	ds_store_b64 v233, v[0:1] offset:23520
	;; [unrolled: 1-line block ×6, first 2 shown]
	global_wb scope:SCOPE_SE
	s_wait_dscnt 0x0
	s_barrier_signal -1
	s_barrier_wait -1
	global_inv scope:SCOPE_SE
	scratch_load_b64 v[5:6], off, off offset:224 th:TH_LOAD_LU ; 8-byte Folded Reload
	ds_load_2addr_b64 v[1:4], v233 offset1:196
	s_clause 0x1
	scratch_load_b64 v[10:11], off, off offset:168 th:TH_LOAD_LU
	scratch_load_b64 v[19:20], off, off offset:144 th:TH_LOAD_LU
	ds_load_2addr_b64 v[23:26], v203 offset1:196
	s_clause 0xe
	scratch_load_b64 v[36:37], off, off offset:104 th:TH_LOAD_LU
	scratch_load_b64 v[40:41], off, off offset:96 th:TH_LOAD_LU
	;; [unrolled: 1-line block ×14, first 2 shown]
	scratch_load_b32 v31, off, off offset:232 th:TH_LOAD_LU
	s_wait_loadcnt_dscnt 0x1101
	v_mul_f32_e32 v0, v6, v2
	s_delay_alu instid0(VALU_DEP_1) | instskip(SKIP_1) | instid1(VALU_DEP_1)
	v_fmac_f32_e32 v0, v5, v1
	v_mul_f32_e32 v1, v6, v1
	v_fma_f32 v1, v5, v2, -v1
	scratch_load_b64 v[5:6], off, off offset:200 th:TH_LOAD_LU ; 8-byte Folded Reload
	s_wait_loadcnt 0x0
	v_mul_f32_e32 v2, v6, v4
	s_delay_alu instid0(VALU_DEP_1) | instskip(SKIP_1) | instid1(VALU_DEP_1)
	v_fmac_f32_e32 v2, v5, v3
	v_mul_f32_e32 v3, v6, v3
	v_fma_f32 v3, v5, v4, -v3
	ds_load_2addr_b64 v[4:7], v246 offset0:16 offset1:212
	s_wait_dscnt 0x0
	v_mul_f32_e32 v9, v11, v5
	s_delay_alu instid0(VALU_DEP_1)
	v_fmac_f32_e32 v9, v10, v4
	v_mul_f32_e32 v4, v11, v4
	scratch_load_b64 v[11:12], off, off offset:192 th:TH_LOAD_LU ; 8-byte Folded Reload
	v_fma_f32 v10, v10, v5, -v4
	s_wait_loadcnt 0x0
	v_mul_f32_e32 v4, v12, v7
	v_mul_f32_e32 v5, v12, v6
	s_delay_alu instid0(VALU_DEP_2) | instskip(NEXT) | instid1(VALU_DEP_2)
	v_fmac_f32_e32 v4, v11, v6
	v_fma_f32 v6, v11, v7, -v5
	scratch_load_b64 v[7:8], off, off offset:136 th:TH_LOAD_LU ; 8-byte Folded Reload
	ds_load_2addr_b64 v[11:14], v217 offset0:32 offset1:228
	s_wait_loadcnt_dscnt 0x0
	v_mul_f32_e32 v16, v8, v12
	v_mul_f32_e32 v5, v8, v11
	s_delay_alu instid0(VALU_DEP_2) | instskip(NEXT) | instid1(VALU_DEP_2)
	v_fmac_f32_e32 v16, v7, v11
	v_fma_f32 v17, v7, v12, -v5
	scratch_load_b64 v[11:12], off, off offset:216 th:TH_LOAD_LU ; 8-byte Folded Reload
	s_wait_loadcnt 0x0
	v_mul_f32_e32 v5, v12, v14
	v_mul_f32_e32 v7, v12, v13
	s_delay_alu instid0(VALU_DEP_2) | instskip(NEXT) | instid1(VALU_DEP_2)
	v_fmac_f32_e32 v5, v11, v13
	v_fma_f32 v8, v11, v14, -v7
	ds_load_2addr_b64 v[11:14], v204 offset0:48 offset1:244
	s_wait_dscnt 0x0
	v_mul_f32_e32 v18, v20, v12
	v_mul_f32_e32 v7, v20, v11
	scratch_load_b64 v[20:21], off, off offset:208 th:TH_LOAD_LU ; 8-byte Folded Reload
	v_fmac_f32_e32 v18, v19, v11
	v_fma_f32 v19, v19, v12, -v7
	s_wait_loadcnt 0x0
	v_mul_f32_e32 v7, v21, v14
	v_mul_f32_e32 v11, v21, v13
	s_delay_alu instid0(VALU_DEP_2) | instskip(NEXT) | instid1(VALU_DEP_2)
	v_fmac_f32_e32 v7, v20, v13
	v_fma_f32 v12, v20, v14, -v11
	scratch_load_b64 v[13:14], off, off offset:128 th:TH_LOAD_LU ; 8-byte Folded Reload
	s_wait_loadcnt 0x0
	v_mul_f32_e32 v22, v14, v24
	v_mul_f32_e32 v11, v14, v23
	scratch_load_b64 v[14:15], off, off offset:184 th:TH_LOAD_LU ; 8-byte Folded Reload
	v_fmac_f32_e32 v22, v13, v23
	v_fma_f32 v23, v13, v24, -v11
	s_wait_loadcnt 0x0
	v_mul_f32_e32 v11, v15, v26
	v_mul_f32_e32 v13, v15, v25
	s_delay_alu instid0(VALU_DEP_2) | instskip(NEXT) | instid1(VALU_DEP_2)
	v_fmac_f32_e32 v11, v14, v25
	v_fma_f32 v13, v14, v26, -v13
	ds_load_2addr_b64 v[24:27], v202 offset0:16 offset1:212
	s_wait_dscnt 0x0
	v_mul_f32_e32 v20, v29, v25
	v_mul_f32_e32 v14, v29, v24
	scratch_load_b64 v[29:30], off, off offset:112 th:TH_LOAD_LU ; 8-byte Folded Reload
	v_fmac_f32_e32 v20, v28, v24
	v_fma_f32 v21, v28, v25, -v14
	scratch_load_b64 v[24:25], off, off offset:176 th:TH_LOAD_LU ; 8-byte Folded Reload
	s_wait_loadcnt 0x0
	v_mul_f32_e32 v14, v25, v27
	v_mul_f32_e32 v15, v25, v26
	s_delay_alu instid0(VALU_DEP_2) | instskip(NEXT) | instid1(VALU_DEP_2)
	v_fmac_f32_e32 v14, v24, v26
	v_fma_f32 v15, v24, v27, -v15
	ds_load_2addr_b64 v[25:28], v197 offset0:32 offset1:228
	s_wait_dscnt 0x0
	v_mul_f32_e32 v24, v30, v26
	s_delay_alu instid0(VALU_DEP_1) | instskip(SKIP_1) | instid1(VALU_DEP_1)
	v_fmac_f32_e32 v24, v29, v25
	v_mul_f32_e32 v25, v30, v25
	v_fma_f32 v25, v29, v26, -v25
	scratch_load_b64 v[29:30], off, off offset:160 th:TH_LOAD_LU ; 8-byte Folded Reload
	s_wait_loadcnt 0x0
	v_mul_f32_e32 v26, v30, v28
	s_delay_alu instid0(VALU_DEP_1) | instskip(SKIP_1) | instid1(VALU_DEP_1)
	v_fmac_f32_e32 v26, v29, v27
	v_mul_f32_e32 v27, v30, v27
	v_fma_f32 v32, v29, v28, -v27
	ds_load_2addr_b64 v[27:30], v243 offset0:8 offset1:204
	s_wait_dscnt 0x0
	v_mul_f32_e32 v33, v35, v28
	s_delay_alu instid0(VALU_DEP_1) | instskip(SKIP_2) | instid1(VALU_DEP_2)
	v_fmac_f32_e32 v33, v34, v27
	v_mul_f32_e32 v27, v35, v27
	v_mul_f32_e32 v35, v37, v30
	v_fma_f32 v34, v34, v28, -v27
	v_mul_f32_e32 v27, v37, v29
	s_delay_alu instid0(VALU_DEP_3) | instskip(NEXT) | instid1(VALU_DEP_2)
	v_fmac_f32_e32 v35, v36, v29
	v_fma_f32 v36, v36, v30, -v27
	ds_load_2addr_b64 v[27:30], v231 offset0:24 offset1:220
	s_wait_dscnt 0x0
	v_mul_f32_e32 v37, v39, v28
	s_delay_alu instid0(VALU_DEP_1) | instskip(SKIP_2) | instid1(VALU_DEP_2)
	v_fmac_f32_e32 v37, v38, v27
	v_mul_f32_e32 v27, v39, v27
	v_mul_f32_e32 v39, v41, v30
	v_fma_f32 v38, v38, v28, -v27
	v_mul_f32_e32 v27, v41, v29
	s_delay_alu instid0(VALU_DEP_3) | instskip(NEXT) | instid1(VALU_DEP_2)
	v_fmac_f32_e32 v39, v40, v29
	;; [unrolled: 12-line block ×4, first 2 shown]
	v_fma_f32 v48, v48, v30, -v27
	ds_load_2addr_b64 v[27:30], v199 offset0:8 offset1:204
	s_wait_dscnt 0x0
	v_mul_f32_e32 v49, v51, v28
	s_delay_alu instid0(VALU_DEP_1) | instskip(SKIP_1) | instid1(VALU_DEP_1)
	v_fmac_f32_e32 v49, v50, v27
	v_mul_f32_e32 v27, v51, v27
	v_fma_f32 v50, v50, v28, -v27
	scratch_load_b64 v[27:28], off, off offset:72 th:TH_LOAD_LU ; 8-byte Folded Reload
	s_wait_loadcnt 0x0
	v_mul_f32_e32 v51, v28, v30
	v_dual_mov_b32 v53, v28 :: v_dual_mov_b32 v52, v27
	s_delay_alu instid0(VALU_DEP_2) | instskip(NEXT) | instid1(VALU_DEP_2)
	v_fmac_f32_e32 v51, v27, v29
	v_mul_f32_e32 v27, v53, v29
	s_delay_alu instid0(VALU_DEP_1) | instskip(SKIP_3) | instid1(VALU_DEP_1)
	v_fma_f32 v52, v52, v30, -v27
	ds_load_2addr_b64 v[27:30], v198 offset0:24 offset1:220
	s_wait_dscnt 0x0
	v_mul_f32_e32 v53, v55, v28
	v_fmac_f32_e32 v53, v54, v27
	v_mul_f32_e32 v27, v55, v27
	v_mul_f32_e32 v55, v57, v30
	s_delay_alu instid0(VALU_DEP_2) | instskip(SKIP_1) | instid1(VALU_DEP_3)
	v_fma_f32 v54, v54, v28, -v27
	v_mul_f32_e32 v27, v57, v29
	v_fmac_f32_e32 v55, v56, v29
	s_delay_alu instid0(VALU_DEP_2) | instskip(SKIP_3) | instid1(VALU_DEP_1)
	v_fma_f32 v56, v56, v30, -v27
	ds_load_2addr_b64 v[27:30], v196 offset0:40 offset1:236
	s_wait_dscnt 0x0
	v_mul_f32_e32 v57, v59, v28
	v_fmac_f32_e32 v57, v58, v27
	v_mul_f32_e32 v27, v59, v27
	v_mul_f32_e32 v59, v61, v30
	s_delay_alu instid0(VALU_DEP_2) | instskip(SKIP_1) | instid1(VALU_DEP_3)
	v_fma_f32 v58, v58, v28, -v27
	v_mul_f32_e32 v27, v61, v29
	v_fmac_f32_e32 v59, v60, v29
	s_delay_alu instid0(VALU_DEP_2) | instskip(SKIP_3) | instid1(VALU_DEP_1)
	v_fma_f32 v60, v60, v30, -v27
	scratch_load_b64 v[29:30], off, off th:TH_LOAD_LU ; 8-byte Folded Reload
	s_wait_loadcnt 0x0
	v_mad_co_u64_u32 v[27:28], null, s6, v29, 0
	v_mad_co_u64_u32 v[28:29], null, s7, v29, v[28:29]
	;; [unrolled: 1-line block ×3, first 2 shown]
	s_mov_b32 s6, 0x515a4f1d
	s_mov_b32 s7, 0x3f27e225
	s_delay_alu instid0(VALU_DEP_2) | instskip(NEXT) | instid1(VALU_DEP_2)
	v_lshlrev_b64_e32 v[27:28], 3, v[27:28]
	v_mad_co_u64_u32 v[30:31], null, s5, v31, v[30:31]
	s_delay_alu instid0(VALU_DEP_2) | instskip(SKIP_1) | instid1(VALU_DEP_3)
	v_add_co_u32 v31, vcc_lo, s0, v27
	s_wait_alu 0xfffd
	v_add_co_ci_u32_e32 v61, vcc_lo, s1, v28, vcc_lo
	s_delay_alu instid0(VALU_DEP_3) | instskip(SKIP_3) | instid1(VALU_DEP_3)
	v_lshlrev_b64_e32 v[27:28], 3, v[29:30]
	v_cvt_f64_f32_e32 v[29:30], v0
	v_cvt_f64_f32_e32 v[0:1], v1
	s_mul_u64 s[0:1], s[4:5], 0x1880
	v_add_co_u32 v27, vcc_lo, v31, v27
	s_wait_alu 0xfffd
	v_add_co_ci_u32_e32 v28, vcc_lo, v61, v28, vcc_lo
	s_wait_alu 0xfffe
	s_delay_alu instid0(VALU_DEP_4) | instskip(NEXT) | instid1(VALU_DEP_4)
	v_mul_f64_e32 v[29:30], s[6:7], v[29:30]
	v_mul_f64_e32 v[0:1], s[6:7], v[0:1]
	s_delay_alu instid0(VALU_DEP_2) | instskip(NEXT) | instid1(VALU_DEP_2)
	v_cvt_f32_f64_e32 v29, v[29:30]
	v_cvt_f32_f64_e32 v30, v[0:1]
	v_cvt_f64_f32_e32 v[0:1], v9
	v_cvt_f64_f32_e32 v[9:10], v10
	global_store_b64 v[27:28], v[29:30], off
	v_mul_f64_e32 v[0:1], s[6:7], v[0:1]
	v_mul_f64_e32 v[9:10], s[6:7], v[9:10]
	v_cvt_f64_f32_e32 v[30:31], v51
	s_delay_alu instid0(VALU_DEP_3) | instskip(NEXT) | instid1(VALU_DEP_3)
	v_cvt_f32_f64_e32 v0, v[0:1]
	v_cvt_f32_f64_e32 v1, v[9:10]
	v_cvt_f64_f32_e32 v[9:10], v16
	v_cvt_f64_f32_e32 v[16:17], v17
	v_mul_f64_e32 v[30:31], s[6:7], v[30:31]
	s_delay_alu instid0(VALU_DEP_3) | instskip(NEXT) | instid1(VALU_DEP_3)
	v_mul_f64_e32 v[9:10], s[6:7], v[9:10]
	v_mul_f64_e32 v[16:17], s[6:7], v[16:17]
	s_delay_alu instid0(VALU_DEP_3) | instskip(NEXT) | instid1(VALU_DEP_3)
	v_cvt_f32_f64_e32 v30, v[30:31]
	v_cvt_f32_f64_e32 v9, v[9:10]
	s_delay_alu instid0(VALU_DEP_3) | instskip(SKIP_2) | instid1(VALU_DEP_2)
	v_cvt_f32_f64_e32 v10, v[16:17]
	v_cvt_f64_f32_e32 v[16:17], v18
	v_cvt_f64_f32_e32 v[18:19], v19
	v_mul_f64_e32 v[16:17], s[6:7], v[16:17]
	s_delay_alu instid0(VALU_DEP_2) | instskip(NEXT) | instid1(VALU_DEP_2)
	v_mul_f64_e32 v[18:19], s[6:7], v[18:19]
	v_cvt_f32_f64_e32 v16, v[16:17]
	s_delay_alu instid0(VALU_DEP_2) | instskip(SKIP_2) | instid1(VALU_DEP_2)
	v_cvt_f32_f64_e32 v17, v[18:19]
	v_cvt_f64_f32_e32 v[18:19], v22
	v_cvt_f64_f32_e32 v[22:23], v23
	v_mul_f64_e32 v[18:19], s[6:7], v[18:19]
	s_delay_alu instid0(VALU_DEP_2) | instskip(NEXT) | instid1(VALU_DEP_2)
	v_mul_f64_e32 v[22:23], s[6:7], v[22:23]
	v_cvt_f32_f64_e32 v18, v[18:19]
	s_delay_alu instid0(VALU_DEP_2)
	v_cvt_f32_f64_e32 v19, v[22:23]
	v_add_co_u32 v22, vcc_lo, v27, s0
	s_wait_alu 0xfffd
	v_add_co_ci_u32_e32 v23, vcc_lo, s1, v28, vcc_lo
	v_cvt_f64_f32_e32 v[28:29], v47
	global_store_b64 v[22:23], v[0:1], off
	v_add_co_u32 v0, vcc_lo, v22, s0
	s_wait_alu 0xfffd
	v_add_co_ci_u32_e32 v1, vcc_lo, s1, v23, vcc_lo
	v_cvt_f64_f32_e32 v[22:23], v35
	global_store_b64 v[0:1], v[9:10], off
	;; [unrolled: 5-line block ×3, first 2 shown]
	v_cvt_f64_f32_e32 v[16:17], v21
	v_add_co_u32 v0, vcc_lo, v0, s0
	s_wait_alu 0xfffd
	v_add_co_ci_u32_e32 v1, vcc_lo, s1, v1, vcc_lo
	v_cvt_f64_f32_e32 v[20:21], v58
	global_store_b64 v[0:1], v[18:19], off
	v_cvt_f64_f32_e32 v[18:19], v25
	v_add_co_u32 v0, vcc_lo, v0, s0
	s_wait_alu 0xfffd
	v_add_co_ci_u32_e32 v1, vcc_lo, s1, v1, vcc_lo
	v_mul_f64_e32 v[28:29], s[6:7], v[28:29]
	v_mul_f64_e32 v[22:23], s[6:7], v[22:23]
	;; [unrolled: 1-line block ×6, first 2 shown]
	v_cvt_f32_f64_e32 v28, v[28:29]
	v_cvt_f32_f64_e32 v22, v[22:23]
	;; [unrolled: 1-line block ×4, first 2 shown]
	v_cvt_f64_f32_e32 v[16:17], v24
	v_cvt_f64_f32_e32 v[24:25], v39
	global_store_b64 v[0:1], v[9:10], off
	v_mul_f64_e32 v[16:17], s[6:7], v[16:17]
	v_cvt_f64_f32_e32 v[9:10], v2
	v_cvt_f64_f32_e32 v[2:3], v3
	v_add_co_u32 v0, vcc_lo, v0, s0
	s_wait_alu 0xfffd
	v_add_co_ci_u32_e32 v1, vcc_lo, s1, v1, vcc_lo
	v_mul_f64_e32 v[24:25], s[6:7], v[24:25]
	v_cvt_f32_f64_e32 v16, v[16:17]
	v_cvt_f32_f64_e32 v17, v[18:19]
	v_mul_f64_e32 v[9:10], s[6:7], v[9:10]
	v_mul_f64_e32 v[2:3], s[6:7], v[2:3]
	v_cvt_f32_f64_e32 v24, v[24:25]
	global_store_b64 v[0:1], v[16:17], off
	v_cvt_f32_f64_e32 v9, v[9:10]
	v_cvt_f32_f64_e32 v10, v[2:3]
	v_cvt_f64_f32_e32 v[2:3], v4
	v_cvt_f64_f32_e32 v[16:17], v6
	v_add_co_u32 v0, vcc_lo, v0, s2
	s_wait_alu 0xfffd
	v_add_co_ci_u32_e32 v1, vcc_lo, s3, v1, vcc_lo
	v_cvt_f64_f32_e32 v[4:5], v5
	global_store_b64 v[0:1], v[9:10], off
	v_mul_f64_e32 v[2:3], s[6:7], v[2:3]
	v_mul_f64_e32 v[16:17], s[6:7], v[16:17]
	v_cvt_f64_f32_e32 v[8:9], v8
	v_add_co_u32 v0, vcc_lo, v0, s0
	s_wait_alu 0xfffd
	v_add_co_ci_u32_e32 v1, vcc_lo, s1, v1, vcc_lo
	v_mul_f64_e32 v[4:5], s[6:7], v[4:5]
	v_cvt_f32_f64_e32 v2, v[2:3]
	v_cvt_f32_f64_e32 v3, v[16:17]
	v_mul_f64_e32 v[8:9], s[6:7], v[8:9]
	v_cvt_f64_f32_e32 v[16:17], v50
	v_cvt_f32_f64_e32 v4, v[4:5]
	global_store_b64 v[0:1], v[2:3], off
	v_cvt_f64_f32_e32 v[2:3], v7
	v_cvt_f64_f32_e32 v[6:7], v12
	v_cvt_f32_f64_e32 v5, v[8:9]
	v_add_co_u32 v0, vcc_lo, v0, s0
	s_wait_alu 0xfffd
	v_add_co_ci_u32_e32 v1, vcc_lo, s1, v1, vcc_lo
	v_cvt_f64_f32_e32 v[8:9], v33
	v_mul_f64_e32 v[16:17], s[6:7], v[16:17]
	v_mul_f64_e32 v[2:3], s[6:7], v[2:3]
	;; [unrolled: 1-line block ×3, first 2 shown]
	global_store_b64 v[0:1], v[4:5], off
	v_cvt_f64_f32_e32 v[4:5], v11
	v_add_co_u32 v0, vcc_lo, v0, s0
	s_wait_alu 0xfffd
	v_add_co_ci_u32_e32 v1, vcc_lo, s1, v1, vcc_lo
	v_mul_f64_e32 v[8:9], s[6:7], v[8:9]
	v_cvt_f64_f32_e32 v[10:11], v37
	v_cvt_f32_f64_e32 v2, v[2:3]
	v_cvt_f32_f64_e32 v3, v[6:7]
	v_cvt_f64_f32_e32 v[6:7], v13
	v_mul_f64_e32 v[4:5], s[6:7], v[4:5]
	v_cvt_f64_f32_e32 v[12:13], v41
	v_cvt_f32_f64_e32 v8, v[8:9]
	v_mul_f64_e32 v[10:11], s[6:7], v[10:11]
	global_store_b64 v[0:1], v[2:3], off
	v_mul_f64_e32 v[6:7], s[6:7], v[6:7]
	v_cvt_f32_f64_e32 v4, v[4:5]
	v_cvt_f64_f32_e32 v[2:3], v14
	v_add_co_u32 v0, vcc_lo, v0, s0
	s_wait_alu 0xfffd
	v_add_co_ci_u32_e32 v1, vcc_lo, s1, v1, vcc_lo
	v_cvt_f32_f64_e32 v10, v[10:11]
	v_mul_f64_e32 v[12:13], s[6:7], v[12:13]
	v_cvt_f32_f64_e32 v5, v[6:7]
	v_cvt_f64_f32_e32 v[6:7], v15
	v_mul_f64_e32 v[2:3], s[6:7], v[2:3]
	v_cvt_f64_f32_e32 v[14:15], v49
	global_store_b64 v[0:1], v[4:5], off
	v_mul_f64_e32 v[6:7], s[6:7], v[6:7]
	v_cvt_f32_f64_e32 v2, v[2:3]
	v_cvt_f64_f32_e32 v[4:5], v32
	v_add_co_u32 v0, vcc_lo, v0, s0
	s_wait_alu 0xfffd
	v_add_co_ci_u32_e32 v1, vcc_lo, s1, v1, vcc_lo
	v_mul_f64_e32 v[14:15], s[6:7], v[14:15]
	v_cvt_f64_f32_e32 v[32:33], v55
	v_cvt_f32_f64_e32 v3, v[6:7]
	v_cvt_f64_f32_e32 v[6:7], v26
	v_mul_f64_e32 v[4:5], s[6:7], v[4:5]
	v_cvt_f64_f32_e32 v[26:27], v43
	v_cvt_f32_f64_e32 v14, v[14:15]
	v_cvt_f32_f64_e32 v15, v[16:17]
	v_cvt_f64_f32_e32 v[16:17], v48
	v_mul_f64_e32 v[32:33], s[6:7], v[32:33]
	global_store_b64 v[0:1], v[2:3], off
	v_mul_f64_e32 v[6:7], s[6:7], v[6:7]
	v_add_co_u32 v0, vcc_lo, v0, s0
	s_wait_alu 0xfffd
	v_add_co_ci_u32_e32 v1, vcc_lo, s1, v1, vcc_lo
	v_cvt_f32_f64_e32 v2, v[12:13]
	v_cvt_f64_f32_e32 v[12:13], v46
	v_mul_f64_e32 v[26:27], s[6:7], v[26:27]
	v_mul_f64_e32 v[16:17], s[6:7], v[16:17]
	v_cvt_f32_f64_e32 v6, v[6:7]
	v_cvt_f32_f64_e32 v7, v[4:5]
	v_cvt_f64_f32_e32 v[4:5], v34
	v_cvt_f64_f32_e32 v[34:35], v59
	v_mul_f64_e32 v[12:13], s[6:7], v[12:13]
	v_cvt_f32_f64_e32 v26, v[26:27]
	v_cvt_f32_f64_e32 v29, v[16:17]
	global_store_b64 v[0:1], v[6:7], off
	v_mul_f64_e32 v[4:5], s[6:7], v[4:5]
	v_add_co_u32 v0, vcc_lo, v0, s2
	s_wait_alu 0xfffd
	v_add_co_ci_u32_e32 v1, vcc_lo, s3, v1, vcc_lo
	v_cvt_f64_f32_e32 v[6:7], v53
	s_delay_alu instid0(VALU_DEP_3) | instskip(SKIP_1) | instid1(VALU_DEP_3)
	v_add_co_u32 v18, vcc_lo, v0, s0
	s_wait_alu 0xfffd
	v_add_co_ci_u32_e32 v19, vcc_lo, s1, v1, vcc_lo
	v_mul_f64_e32 v[34:35], s[6:7], v[34:35]
	v_cvt_f32_f64_e32 v9, v[4:5]
	v_cvt_f64_f32_e32 v[4:5], v38
	v_mul_f64_e32 v[6:7], s[6:7], v[6:7]
	global_store_b64 v[0:1], v[8:9], off
	v_mul_f64_e32 v[4:5], s[6:7], v[4:5]
	v_cvt_f64_f32_e32 v[0:1], v54
	v_cvt_f64_f32_e32 v[8:9], v57
	v_cvt_f32_f64_e32 v6, v[6:7]
	s_delay_alu instid0(VALU_DEP_4)
	v_cvt_f32_f64_e32 v11, v[4:5]
	v_cvt_f64_f32_e32 v[4:5], v42
	v_mul_f64_e32 v[0:1], s[6:7], v[0:1]
	v_mul_f64_e32 v[8:9], s[6:7], v[8:9]
	global_store_b64 v[18:19], v[10:11], off
	v_mul_f64_e32 v[4:5], s[6:7], v[4:5]
	v_add_co_u32 v10, vcc_lo, v18, s0
	s_wait_alu 0xfffd
	v_add_co_ci_u32_e32 v11, vcc_lo, s1, v19, vcc_lo
	v_cvt_f64_f32_e32 v[18:19], v36
	v_cvt_f32_f64_e32 v7, v[0:1]
	v_cvt_f64_f32_e32 v[0:1], v52
	v_cvt_f32_f64_e32 v8, v[8:9]
	v_cvt_f32_f64_e32 v9, v[20:21]
	v_cvt_f64_f32_e32 v[20:21], v56
	v_cvt_f32_f64_e32 v3, v[4:5]
	v_cvt_f64_f32_e32 v[4:5], v45
	v_mul_f64_e32 v[18:19], s[6:7], v[18:19]
	v_mul_f64_e32 v[0:1], s[6:7], v[0:1]
	v_mul_f64_e32 v[20:21], s[6:7], v[20:21]
	global_store_b64 v[10:11], v[2:3], off
	v_mul_f64_e32 v[4:5], s[6:7], v[4:5]
	v_cvt_f64_f32_e32 v[2:3], v40
	v_add_co_u32 v10, vcc_lo, v10, s0
	v_cvt_f32_f64_e32 v23, v[18:19]
	v_cvt_f64_f32_e32 v[18:19], v60
	s_wait_alu 0xfffd
	v_add_co_ci_u32_e32 v11, vcc_lo, s1, v11, vcc_lo
	v_cvt_f32_f64_e32 v31, v[0:1]
	v_cvt_f32_f64_e32 v0, v[32:33]
	;; [unrolled: 1-line block ×6, first 2 shown]
	v_cvt_f64_f32_e32 v[12:13], v44
	v_mul_f64_e32 v[2:3], s[6:7], v[2:3]
	v_mul_f64_e32 v[18:19], s[6:7], v[18:19]
	global_store_b64 v[10:11], v[4:5], off
	v_mul_f64_e32 v[12:13], s[6:7], v[12:13]
	v_cvt_f32_f64_e32 v25, v[2:3]
	v_add_co_u32 v2, vcc_lo, v10, s0
	s_wait_alu 0xfffd
	v_add_co_ci_u32_e32 v3, vcc_lo, s1, v11, vcc_lo
	v_cvt_f32_f64_e32 v21, v[18:19]
	global_store_b64 v[2:3], v[14:15], off
	v_cvt_f32_f64_e32 v27, v[12:13]
	v_add_co_u32 v12, vcc_lo, v2, s0
	s_wait_alu 0xfffd
	v_add_co_ci_u32_e32 v13, vcc_lo, s1, v3, vcc_lo
	s_delay_alu instid0(VALU_DEP_2) | instskip(SKIP_1) | instid1(VALU_DEP_2)
	v_add_co_u32 v16, vcc_lo, v12, s0
	s_wait_alu 0xfffd
	v_add_co_ci_u32_e32 v17, vcc_lo, s1, v13, vcc_lo
	global_store_b64 v[12:13], v[6:7], off
	v_add_co_u32 v18, vcc_lo, v16, s2
	s_wait_alu 0xfffd
	v_add_co_ci_u32_e32 v19, vcc_lo, s3, v17, vcc_lo
	global_store_b64 v[16:17], v[8:9], off
	;; [unrolled: 4-line block ×4, first 2 shown]
	v_add_co_u32 v6, vcc_lo, v2, s0
	s_wait_alu 0xfffd
	v_add_co_ci_u32_e32 v7, vcc_lo, s1, v3, vcc_lo
	s_delay_alu instid0(VALU_DEP_2) | instskip(SKIP_1) | instid1(VALU_DEP_2)
	v_add_co_u32 v8, vcc_lo, v6, s0
	s_wait_alu 0xfffd
	v_add_co_ci_u32_e32 v9, vcc_lo, s1, v7, vcc_lo
	s_delay_alu instid0(VALU_DEP_2) | instskip(SKIP_1) | instid1(VALU_DEP_2)
	;; [unrolled: 4-line block ×3, first 2 shown]
	v_add_co_u32 v4, vcc_lo, v10, s0
	s_wait_alu 0xfffd
	v_add_co_ci_u32_e32 v5, vcc_lo, s1, v11, vcc_lo
	global_store_b64 v[2:3], v[26:27], off
	global_store_b64 v[6:7], v[28:29], off
	global_store_b64 v[8:9], v[30:31], off
	global_store_b64 v[10:11], v[0:1], off
	global_store_b64 v[4:5], v[20:21], off
.LBB0_2:
	s_nop 0
	s_sendmsg sendmsg(MSG_DEALLOC_VGPRS)
	s_endpgm
	.section	.rodata,"a",@progbits
	.p2align	6, 0x0
	.amdhsa_kernel bluestein_single_back_len5488_dim1_sp_op_CI_CI
		.amdhsa_group_segment_fixed_size 43904
		.amdhsa_private_segment_fixed_size 400
		.amdhsa_kernarg_size 104
		.amdhsa_user_sgpr_count 2
		.amdhsa_user_sgpr_dispatch_ptr 0
		.amdhsa_user_sgpr_queue_ptr 0
		.amdhsa_user_sgpr_kernarg_segment_ptr 1
		.amdhsa_user_sgpr_dispatch_id 0
		.amdhsa_user_sgpr_private_segment_size 0
		.amdhsa_wavefront_size32 1
		.amdhsa_uses_dynamic_stack 0
		.amdhsa_enable_private_segment 1
		.amdhsa_system_sgpr_workgroup_id_x 1
		.amdhsa_system_sgpr_workgroup_id_y 0
		.amdhsa_system_sgpr_workgroup_id_z 0
		.amdhsa_system_sgpr_workgroup_info 0
		.amdhsa_system_vgpr_workitem_id 0
		.amdhsa_next_free_vgpr 256
		.amdhsa_next_free_sgpr 20
		.amdhsa_reserve_vcc 1
		.amdhsa_float_round_mode_32 0
		.amdhsa_float_round_mode_16_64 0
		.amdhsa_float_denorm_mode_32 3
		.amdhsa_float_denorm_mode_16_64 3
		.amdhsa_fp16_overflow 0
		.amdhsa_workgroup_processor_mode 1
		.amdhsa_memory_ordered 1
		.amdhsa_forward_progress 0
		.amdhsa_round_robin_scheduling 0
		.amdhsa_exception_fp_ieee_invalid_op 0
		.amdhsa_exception_fp_denorm_src 0
		.amdhsa_exception_fp_ieee_div_zero 0
		.amdhsa_exception_fp_ieee_overflow 0
		.amdhsa_exception_fp_ieee_underflow 0
		.amdhsa_exception_fp_ieee_inexact 0
		.amdhsa_exception_int_div_zero 0
	.end_amdhsa_kernel
	.text
.Lfunc_end0:
	.size	bluestein_single_back_len5488_dim1_sp_op_CI_CI, .Lfunc_end0-bluestein_single_back_len5488_dim1_sp_op_CI_CI
                                        ; -- End function
	.section	.AMDGPU.csdata,"",@progbits
; Kernel info:
; codeLenInByte = 33916
; NumSgprs: 22
; NumVgprs: 256
; ScratchSize: 400
; MemoryBound: 0
; FloatMode: 240
; IeeeMode: 1
; LDSByteSize: 43904 bytes/workgroup (compile time only)
; SGPRBlocks: 2
; VGPRBlocks: 31
; NumSGPRsForWavesPerEU: 22
; NumVGPRsForWavesPerEU: 256
; Occupancy: 4
; WaveLimiterHint : 1
; COMPUTE_PGM_RSRC2:SCRATCH_EN: 1
; COMPUTE_PGM_RSRC2:USER_SGPR: 2
; COMPUTE_PGM_RSRC2:TRAP_HANDLER: 0
; COMPUTE_PGM_RSRC2:TGID_X_EN: 1
; COMPUTE_PGM_RSRC2:TGID_Y_EN: 0
; COMPUTE_PGM_RSRC2:TGID_Z_EN: 0
; COMPUTE_PGM_RSRC2:TIDIG_COMP_CNT: 0
	.text
	.p2alignl 7, 3214868480
	.fill 96, 4, 3214868480
	.type	__hip_cuid_90c282520472f9a4,@object ; @__hip_cuid_90c282520472f9a4
	.section	.bss,"aw",@nobits
	.globl	__hip_cuid_90c282520472f9a4
__hip_cuid_90c282520472f9a4:
	.byte	0                               ; 0x0
	.size	__hip_cuid_90c282520472f9a4, 1

	.ident	"AMD clang version 19.0.0git (https://github.com/RadeonOpenCompute/llvm-project roc-6.4.0 25133 c7fe45cf4b819c5991fe208aaa96edf142730f1d)"
	.section	".note.GNU-stack","",@progbits
	.addrsig
	.addrsig_sym __hip_cuid_90c282520472f9a4
	.amdgpu_metadata
---
amdhsa.kernels:
  - .args:
      - .actual_access:  read_only
        .address_space:  global
        .offset:         0
        .size:           8
        .value_kind:     global_buffer
      - .actual_access:  read_only
        .address_space:  global
        .offset:         8
        .size:           8
        .value_kind:     global_buffer
      - .actual_access:  read_only
        .address_space:  global
        .offset:         16
        .size:           8
        .value_kind:     global_buffer
      - .actual_access:  read_only
        .address_space:  global
        .offset:         24
        .size:           8
        .value_kind:     global_buffer
      - .actual_access:  read_only
        .address_space:  global
        .offset:         32
        .size:           8
        .value_kind:     global_buffer
      - .offset:         40
        .size:           8
        .value_kind:     by_value
      - .address_space:  global
        .offset:         48
        .size:           8
        .value_kind:     global_buffer
      - .address_space:  global
        .offset:         56
        .size:           8
        .value_kind:     global_buffer
      - .address_space:  global
        .offset:         64
        .size:           8
        .value_kind:     global_buffer
      - .address_space:  global
        .offset:         72
        .size:           8
        .value_kind:     global_buffer
      - .offset:         80
        .size:           4
        .value_kind:     by_value
      - .address_space:  global
        .offset:         88
        .size:           8
        .value_kind:     global_buffer
      - .address_space:  global
        .offset:         96
        .size:           8
        .value_kind:     global_buffer
    .group_segment_fixed_size: 43904
    .kernarg_segment_align: 8
    .kernarg_segment_size: 104
    .language:       OpenCL C
    .language_version:
      - 2
      - 0
    .max_flat_workgroup_size: 196
    .name:           bluestein_single_back_len5488_dim1_sp_op_CI_CI
    .private_segment_fixed_size: 400
    .sgpr_count:     22
    .sgpr_spill_count: 0
    .symbol:         bluestein_single_back_len5488_dim1_sp_op_CI_CI.kd
    .uniform_work_group_size: 1
    .uses_dynamic_stack: false
    .vgpr_count:     256
    .vgpr_spill_count: 99
    .wavefront_size: 32
    .workgroup_processor_mode: 1
amdhsa.target:   amdgcn-amd-amdhsa--gfx1201
amdhsa.version:
  - 1
  - 2
...

	.end_amdgpu_metadata
